;; amdgpu-corpus repo=ROCm/rocFFT kind=compiled arch=gfx906 opt=O3
	.text
	.amdgcn_target "amdgcn-amd-amdhsa--gfx906"
	.amdhsa_code_object_version 6
	.protected	bluestein_single_back_len1768_dim1_half_op_CI_CI ; -- Begin function bluestein_single_back_len1768_dim1_half_op_CI_CI
	.globl	bluestein_single_back_len1768_dim1_half_op_CI_CI
	.p2align	8
	.type	bluestein_single_back_len1768_dim1_half_op_CI_CI,@function
bluestein_single_back_len1768_dim1_half_op_CI_CI: ; @bluestein_single_back_len1768_dim1_half_op_CI_CI
; %bb.0:
	s_mov_b64 s[50:51], s[2:3]
	s_mov_b64 s[48:49], s[0:1]
	s_load_dwordx4 s[0:3], s[4:5], 0x28
	v_mul_u32_u24_e32 v1, 0x1e2, v0
	v_add_u32_sdwa v173, s6, v1 dst_sel:DWORD dst_unused:UNUSED_PAD src0_sel:DWORD src1_sel:WORD_1
	v_mov_b32_e32 v174, 0
	s_add_u32 s48, s48, s7
	s_waitcnt lgkmcnt(0)
	v_cmp_gt_u64_e32 vcc, s[0:1], v[173:174]
	s_addc_u32 s49, s49, 0
	s_and_saveexec_b64 s[0:1], vcc
	s_cbranch_execz .LBB0_23
; %bb.1:
	s_load_dwordx2 s[6:7], s[4:5], 0x0
	s_load_dwordx2 s[12:13], s[4:5], 0x38
	s_movk_i32 s0, 0x88
	v_mul_lo_u16_sdwa v1, v1, s0 dst_sel:DWORD dst_unused:UNUSED_PAD src0_sel:WORD_1 src1_sel:DWORD
	v_sub_u16_e32 v172, v0, v1
	s_movk_i32 s0, 0x68
	v_cmp_gt_u16_e32 vcc, s0, v172
	v_lshlrev_b32_e32 v48, 2, v172
	s_and_saveexec_b64 s[14:15], vcc
	s_cbranch_execz .LBB0_3
; %bb.2:
	s_load_dwordx2 s[0:1], s[4:5], 0x18
	s_waitcnt lgkmcnt(0)
	v_mov_b32_e32 v14, s7
	v_add_u32_e32 v15, 0x200, v48
	v_or_b32_e32 v18, 0x680, v172
	v_lshlrev_b32_e32 v20, 2, v18
	s_load_dwordx4 s[8:11], s[0:1], 0x0
	s_waitcnt lgkmcnt(0)
	v_mad_u64_u32 v[0:1], s[0:1], s10, v173, 0
	v_mad_u64_u32 v[2:3], s[0:1], s8, v172, 0
	;; [unrolled: 1-line block ×4, first 2 shown]
	v_mov_b32_e32 v1, v4
	v_lshlrev_b64 v[0:1], 2, v[0:1]
	v_mov_b32_e32 v3, v5
	v_mov_b32_e32 v6, s3
	v_lshlrev_b64 v[2:3], 2, v[2:3]
	v_add_co_u32_e64 v7, s[0:1], s2, v0
	v_addc_co_u32_e64 v8, s[0:1], v6, v1, s[0:1]
	v_add_co_u32_e64 v0, s[0:1], v7, v2
	v_addc_co_u32_e64 v1, s[0:1], v8, v3, s[0:1]
	s_mul_i32 s0, s9, 0x1a0
	s_mul_hi_u32 s3, s8, 0x1a0
	s_add_i32 s3, s3, s0
	s_mul_i32 s2, s8, 0x1a0
	v_mov_b32_e32 v3, s3
	v_add_co_u32_e64 v2, s[0:1], s2, v0
	v_addc_co_u32_e64 v3, s[0:1], v1, v3, s[0:1]
	global_load_dword v4, v[0:1], off
	global_load_dword v5, v[2:3], off
	global_load_dword v6, v48, s[6:7]
	global_load_dword v9, v48, s[6:7] offset:416
	v_mov_b32_e32 v1, s3
	v_add_co_u32_e64 v0, s[0:1], s2, v2
	v_addc_co_u32_e64 v1, s[0:1], v3, v1, s[0:1]
	global_load_dword v2, v[0:1], off
	global_load_dword v3, v48, s[6:7] offset:832
	v_mov_b32_e32 v10, s3
	v_add_co_u32_e64 v0, s[0:1], s2, v0
	v_addc_co_u32_e64 v1, s[0:1], v1, v10, s[0:1]
	global_load_dword v10, v[0:1], off
	;; [unrolled: 5-line block ×3, first 2 shown]
	global_load_dword v13, v48, s[6:7] offset:1664
	v_add_co_u32_e64 v19, s[0:1], s6, v48
	v_addc_co_u32_e64 v14, s[0:1], 0, v14, s[0:1]
	v_mov_b32_e32 v21, s3
	v_add_co_u32_e64 v0, s[0:1], s2, v0
	v_addc_co_u32_e64 v1, s[0:1], v1, v21, s[0:1]
	global_load_dword v16, v48, s[6:7] offset:2080
	global_load_dword v17, v48, s[6:7] offset:2496
	v_mov_b32_e32 v22, s3
	global_load_dword v21, v[0:1], off
	v_add_co_u32_e64 v0, s[0:1], s2, v0
	v_addc_co_u32_e64 v1, s[0:1], v1, v22, s[0:1]
	global_load_dword v20, v20, s[6:7]
	v_mov_b32_e32 v30, s3
	s_waitcnt vmcnt(13)
	v_lshrrev_b32_e32 v22, 16, v4
	s_waitcnt vmcnt(11)
	v_mul_f16_sdwa v23, v6, v4 dst_sel:DWORD dst_unused:UNUSED_PAD src0_sel:WORD_1 src1_sel:DWORD
	v_mul_f16_sdwa v24, v6, v22 dst_sel:DWORD dst_unused:UNUSED_PAD src0_sel:WORD_1 src1_sel:DWORD
	v_fma_f16 v22, v6, v22, -v23
	v_lshrrev_b32_e32 v23, 16, v5
	s_waitcnt vmcnt(10)
	v_mul_f16_sdwa v25, v9, v5 dst_sel:DWORD dst_unused:UNUSED_PAD src0_sel:WORD_1 src1_sel:DWORD
	v_fma_f16 v4, v6, v4, v24
	v_mul_f16_sdwa v6, v9, v23 dst_sel:DWORD dst_unused:UNUSED_PAD src0_sel:WORD_1 src1_sel:DWORD
	s_waitcnt vmcnt(9)
	v_lshrrev_b32_e32 v24, 16, v2
	v_fma_f16 v23, v9, v23, -v25
	s_waitcnt vmcnt(8)
	v_mul_f16_sdwa v25, v3, v2 dst_sel:DWORD dst_unused:UNUSED_PAD src0_sel:WORD_1 src1_sel:DWORD
	v_pack_b32_f16 v4, v4, v22
	v_fma_f16 v5, v9, v5, v6
	v_mul_f16_sdwa v6, v3, v24 dst_sel:DWORD dst_unused:UNUSED_PAD src0_sel:WORD_1 src1_sel:DWORD
	s_waitcnt vmcnt(7)
	v_lshrrev_b32_e32 v22, 16, v10
	v_fma_f16 v9, v3, v24, -v25
	s_waitcnt vmcnt(6)
	v_mul_f16_sdwa v24, v11, v10 dst_sel:DWORD dst_unused:UNUSED_PAD src0_sel:WORD_1 src1_sel:DWORD
	v_fma_f16 v2, v3, v2, v6
	v_mul_f16_sdwa v3, v11, v22 dst_sel:DWORD dst_unused:UNUSED_PAD src0_sel:WORD_1 src1_sel:DWORD
	v_fma_f16 v6, v11, v22, -v24
	v_fma_f16 v3, v11, v10, v3
	v_pack_b32_f16 v5, v5, v23
	v_pack_b32_f16 v2, v2, v9
	;; [unrolled: 1-line block ×3, first 2 shown]
	s_waitcnt vmcnt(5)
	v_lshrrev_b32_e32 v22, 16, v12
	ds_write2_b32 v48, v4, v5 offset1:104
	ds_write2_b32 v15, v2, v3 offset0:80 offset1:184
	global_load_dword v11, v[0:1], off
	v_mov_b32_e32 v2, s3
	v_add_co_u32_e64 v0, s[0:1], s2, v0
	s_waitcnt vmcnt(5)
	v_mul_f16_sdwa v4, v13, v22 dst_sel:DWORD dst_unused:UNUSED_PAD src0_sel:WORD_1 src1_sel:DWORD
	v_addc_co_u32_e64 v1, s[0:1], v1, v2, s[0:1]
	v_mul_f16_sdwa v23, v13, v12 dst_sel:DWORD dst_unused:UNUSED_PAD src0_sel:WORD_1 src1_sel:DWORD
	v_fma_f16 v10, v13, v12, v4
	global_load_dword v12, v[0:1], off
	v_add_co_u32_e64 v0, s[0:1], s2, v0
	v_addc_co_u32_e64 v1, s[0:1], v1, v2, s[0:1]
	v_fma_f16 v9, v13, v22, -v23
	global_load_dword v13, v[0:1], off
	global_load_dword v15, v48, s[6:7] offset:2912
	v_add_co_u32_e64 v0, s[0:1], s2, v0
	v_addc_co_u32_e64 v1, s[0:1], v1, v2, s[0:1]
	global_load_dword v22, v[0:1], off
	global_load_dword v23, v48, s[6:7] offset:3328
	global_load_dword v24, v48, s[6:7] offset:3744
	v_add_co_u32_e64 v0, s[0:1], s2, v0
	v_addc_co_u32_e64 v1, s[0:1], v1, v2, s[0:1]
	s_movk_i32 s0, 0x1000
	v_add_co_u32_e64 v2, s[0:1], s0, v19
	v_addc_co_u32_e64 v3, s[0:1], 0, v14, s[0:1]
	global_load_dword v25, v[0:1], off
	v_mov_b32_e32 v4, s3
	v_add_co_u32_e64 v0, s[0:1], s2, v0
	v_addc_co_u32_e64 v1, s[0:1], v1, v4, s[0:1]
	global_load_dword v14, v[0:1], off
	global_load_dword v19, v[2:3], off offset:64
	global_load_dword v27, v[2:3], off offset:480
	v_add_co_u32_e64 v0, s[0:1], s2, v0
	v_addc_co_u32_e64 v1, s[0:1], v1, v4, s[0:1]
	v_mad_u64_u32 v[4:5], s[0:1], s8, v18, 0
	global_load_dword v28, v[0:1], off
	global_load_dword v29, v[2:3], off offset:896
	v_mov_b32_e32 v6, s3
	v_add_co_u32_e64 v0, s[0:1], s2, v0
	v_addc_co_u32_e64 v1, s[0:1], v1, v6, s[0:1]
	v_mad_u64_u32 v[5:6], s[0:1], s9, v18, v[5:6]
	global_load_dword v6, v[0:1], off
	global_load_dword v18, v[2:3], off offset:1312
	v_add_co_u32_e64 v0, s[0:1], s2, v0
	v_addc_co_u32_e64 v1, s[0:1], v1, v30, s[0:1]
	global_load_dword v31, v[0:1], off
	global_load_dword v32, v[2:3], off offset:1728
	v_add_co_u32_e64 v0, s[0:1], s2, v0
	v_addc_co_u32_e64 v1, s[0:1], v1, v30, s[0:1]
	global_load_dword v30, v[0:1], off
	global_load_dword v33, v[2:3], off offset:2144
	v_lshlrev_b64 v[0:1], 2, v[4:5]
	s_waitcnt vmcnt(20)
	v_lshrrev_b32_e32 v2, 16, v21
	v_add_co_u32_e64 v0, s[0:1], v7, v0
	v_addc_co_u32_e64 v1, s[0:1], v8, v1, s[0:1]
	global_load_dword v0, v[0:1], off
	v_mul_f16_sdwa v3, v16, v2 dst_sel:DWORD dst_unused:UNUSED_PAD src0_sel:WORD_1 src1_sel:DWORD
	v_mul_f16_sdwa v4, v16, v21 dst_sel:DWORD dst_unused:UNUSED_PAD src0_sel:WORD_1 src1_sel:DWORD
	v_fma_f16 v3, v16, v21, v3
	v_fma_f16 v2, v16, v2, -v4
	v_pack_b32_f16 v1, v10, v9
	v_pack_b32_f16 v2, v3, v2
	v_add_u32_e32 v3, 0x600, v48
	ds_write2_b32 v3, v1, v2 offset0:32 offset1:136
	s_waitcnt vmcnt(19)
	v_lshrrev_b32_e32 v1, 16, v11
	v_mul_f16_sdwa v2, v17, v1 dst_sel:DWORD dst_unused:UNUSED_PAD src0_sel:WORD_1 src1_sel:DWORD
	v_mul_f16_sdwa v3, v17, v11 dst_sel:DWORD dst_unused:UNUSED_PAD src0_sel:WORD_1 src1_sel:DWORD
	v_fma_f16 v2, v17, v11, v2
	v_fma_f16 v1, v17, v1, -v3
	v_pack_b32_f16 v1, v2, v1
	s_waitcnt vmcnt(18)
	v_lshrrev_b32_e32 v2, 16, v12
	s_waitcnt vmcnt(16)
	v_mul_f16_sdwa v3, v15, v2 dst_sel:DWORD dst_unused:UNUSED_PAD src0_sel:WORD_1 src1_sel:DWORD
	v_mul_f16_sdwa v4, v15, v12 dst_sel:DWORD dst_unused:UNUSED_PAD src0_sel:WORD_1 src1_sel:DWORD
	v_fma_f16 v3, v15, v12, v3
	v_fma_f16 v2, v15, v2, -v4
	v_pack_b32_f16 v2, v3, v2
	v_add_u32_e32 v3, 0x800, v48
	ds_write2_b32 v3, v1, v2 offset0:112 offset1:216
	v_lshrrev_b32_e32 v1, 16, v13
	s_waitcnt vmcnt(14)
	v_mul_f16_sdwa v2, v23, v1 dst_sel:DWORD dst_unused:UNUSED_PAD src0_sel:WORD_1 src1_sel:DWORD
	v_mul_f16_sdwa v3, v23, v13 dst_sel:DWORD dst_unused:UNUSED_PAD src0_sel:WORD_1 src1_sel:DWORD
	v_fma_f16 v2, v23, v13, v2
	v_fma_f16 v1, v23, v1, -v3
	v_pack_b32_f16 v1, v2, v1
	v_lshrrev_b32_e32 v2, 16, v22
	s_waitcnt vmcnt(13)
	v_mul_f16_sdwa v3, v24, v2 dst_sel:DWORD dst_unused:UNUSED_PAD src0_sel:WORD_1 src1_sel:DWORD
	v_mul_f16_sdwa v4, v24, v22 dst_sel:DWORD dst_unused:UNUSED_PAD src0_sel:WORD_1 src1_sel:DWORD
	v_fma_f16 v3, v24, v22, v3
	v_fma_f16 v2, v24, v2, -v4
	v_pack_b32_f16 v2, v3, v2
	v_add_u32_e32 v3, 0xc00, v48
	ds_write2_b32 v3, v1, v2 offset0:64 offset1:168
	s_waitcnt vmcnt(12)
	v_lshrrev_b32_e32 v1, 16, v25
	s_waitcnt vmcnt(10)
	v_mul_f16_sdwa v2, v19, v1 dst_sel:DWORD dst_unused:UNUSED_PAD src0_sel:WORD_1 src1_sel:DWORD
	v_mul_f16_sdwa v3, v19, v25 dst_sel:DWORD dst_unused:UNUSED_PAD src0_sel:WORD_1 src1_sel:DWORD
	v_fma_f16 v2, v19, v25, v2
	v_fma_f16 v1, v19, v1, -v3
	v_pack_b32_f16 v1, v2, v1
	v_lshrrev_b32_e32 v2, 16, v14
	s_waitcnt vmcnt(9)
	v_mul_f16_sdwa v3, v27, v2 dst_sel:DWORD dst_unused:UNUSED_PAD src0_sel:WORD_1 src1_sel:DWORD
	v_mul_f16_sdwa v4, v27, v14 dst_sel:DWORD dst_unused:UNUSED_PAD src0_sel:WORD_1 src1_sel:DWORD
	v_fma_f16 v3, v27, v14, v3
	v_fma_f16 v2, v27, v2, -v4
	v_pack_b32_f16 v2, v3, v2
	v_add_u32_e32 v3, 0x1000, v48
	ds_write2_b32 v3, v1, v2 offset0:16 offset1:120
	s_waitcnt vmcnt(8)
	v_lshrrev_b32_e32 v1, 16, v28
	s_waitcnt vmcnt(7)
	v_mul_f16_sdwa v2, v29, v1 dst_sel:DWORD dst_unused:UNUSED_PAD src0_sel:WORD_1 src1_sel:DWORD
	v_mul_f16_sdwa v3, v29, v28 dst_sel:DWORD dst_unused:UNUSED_PAD src0_sel:WORD_1 src1_sel:DWORD
	v_fma_f16 v2, v29, v28, v2
	v_fma_f16 v1, v29, v1, -v3
	v_pack_b32_f16 v1, v2, v1
	s_waitcnt vmcnt(6)
	v_lshrrev_b32_e32 v2, 16, v6
	s_waitcnt vmcnt(5)
	v_mul_f16_sdwa v3, v18, v2 dst_sel:DWORD dst_unused:UNUSED_PAD src0_sel:WORD_1 src1_sel:DWORD
	v_mul_f16_sdwa v4, v18, v6 dst_sel:DWORD dst_unused:UNUSED_PAD src0_sel:WORD_1 src1_sel:DWORD
	v_fma_f16 v3, v18, v6, v3
	v_fma_f16 v2, v18, v2, -v4
	v_pack_b32_f16 v2, v3, v2
	v_add_u32_e32 v3, 0x1200, v48
	ds_write2_b32 v3, v1, v2 offset0:96 offset1:200
	s_waitcnt vmcnt(4)
	v_lshrrev_b32_e32 v1, 16, v31
	s_waitcnt vmcnt(3)
	v_mul_f16_sdwa v2, v32, v1 dst_sel:DWORD dst_unused:UNUSED_PAD src0_sel:WORD_1 src1_sel:DWORD
	v_mul_f16_sdwa v3, v32, v31 dst_sel:DWORD dst_unused:UNUSED_PAD src0_sel:WORD_1 src1_sel:DWORD
	v_fma_f16 v2, v32, v31, v2
	v_fma_f16 v1, v32, v1, -v3
	v_pack_b32_f16 v1, v2, v1
	s_waitcnt vmcnt(2)
	v_lshrrev_b32_e32 v2, 16, v30
	s_waitcnt vmcnt(1)
	v_mul_f16_sdwa v3, v33, v2 dst_sel:DWORD dst_unused:UNUSED_PAD src0_sel:WORD_1 src1_sel:DWORD
	v_mul_f16_sdwa v4, v33, v30 dst_sel:DWORD dst_unused:UNUSED_PAD src0_sel:WORD_1 src1_sel:DWORD
	v_fma_f16 v3, v33, v30, v3
	v_fma_f16 v2, v33, v2, -v4
	v_pack_b32_f16 v2, v3, v2
	v_add_u32_e32 v3, 0x1600, v48
	ds_write2_b32 v3, v1, v2 offset0:48 offset1:152
	s_waitcnt vmcnt(0)
	v_lshrrev_b32_e32 v1, 16, v0
	v_mul_f16_sdwa v2, v20, v1 dst_sel:DWORD dst_unused:UNUSED_PAD src0_sel:WORD_1 src1_sel:DWORD
	v_fma_f16 v2, v20, v0, v2
	v_mul_f16_sdwa v0, v20, v0 dst_sel:DWORD dst_unused:UNUSED_PAD src0_sel:WORD_1 src1_sel:DWORD
	v_fma_f16 v0, v20, v1, -v0
	v_pack_b32_f16 v0, v2, v0
	ds_write_b32 v48, v0 offset:6656
.LBB0_3:
	s_or_b64 exec, exec, s[14:15]
	s_load_dwordx2 s[0:1], s[4:5], 0x20
	s_load_dwordx2 s[2:3], s[4:5], 0x8
	v_mov_b32_e32 v0, 0
	s_waitcnt lgkmcnt(0)
	s_barrier
	s_waitcnt lgkmcnt(0)
                                        ; implicit-def: $vgpr16
                                        ; implicit-def: $vgpr11
                                        ; implicit-def: $vgpr9
                                        ; implicit-def: $vgpr7
                                        ; implicit-def: $vgpr5
                                        ; implicit-def: $vgpr3
                                        ; implicit-def: $vgpr13
                                        ; implicit-def: $vgpr15
                                        ; implicit-def: $vgpr31
	s_and_saveexec_b64 s[4:5], vcc
	s_cbranch_execz .LBB0_5
; %bb.4:
	v_add_u32_e32 v2, 0x200, v48
	ds_read2_b32 v[14:15], v2 offset0:80 offset1:184
	v_add_u32_e32 v2, 0x600, v48
	ds_read2_b32 v[12:13], v2 offset0:32 offset1:136
	v_add_u32_e32 v2, 0x800, v48
	v_add_u32_e32 v4, 0xc00, v48
	;; [unrolled: 1-line block ×5, first 2 shown]
	ds_read2_b32 v[0:1], v48 offset1:104
	ds_read2_b32 v[2:3], v2 offset0:112 offset1:216
	ds_read2_b32 v[4:5], v4 offset0:64 offset1:168
	;; [unrolled: 1-line block ×5, first 2 shown]
	ds_read_b32 v16, v48 offset:6656
	s_waitcnt lgkmcnt(8)
	v_alignbit_b32 v31, v14, v14, 16
.LBB0_5:
	s_or_b64 exec, exec, s[4:5]
	s_waitcnt lgkmcnt(0)
	v_pk_add_f16 v14, v1, v16 neg_lo:[0,1] neg_hi:[0,1]
	s_mov_b32 s24, 0xb5c8
	v_pk_add_f16 v17, v16, v1
	s_movk_i32 s8, 0x3b76
	v_mul_f16_sdwa v21, v14, s24 dst_sel:DWORD dst_unused:UNUSED_PAD src0_sel:WORD_1 src1_sel:DWORD
	v_fma_f16 v18, v17, s8, v21
	v_lshrrev_b32_e32 v46, 16, v17
	s_movk_i32 s9, 0x39e9
	v_mul_f16_e32 v25, 0xb964, v14
	v_add_f16_e32 v20, v18, v0
	v_fma_f16 v18, v46, s9, -v25
	s_mov_b32 s27, 0xb964
	v_add_f16_sdwa v22, v18, v0 dst_sel:DWORD dst_unused:UNUSED_PAD src0_sel:DWORD src1_sel:WORD_1
	v_pk_add_f16 v18, v11, v31 op_sel:[1,0] op_sel_hi:[0,1]
	v_pk_add_f16 v19, v31, v11 op_sel:[1,0] op_sel_hi:[0,1] neg_lo:[0,1] neg_hi:[0,1]
	v_lshrrev_b32_e32 v52, 16, v18
	v_mul_f16_sdwa v24, v19, s27 dst_sel:DWORD dst_unused:UNUSED_PAD src0_sel:WORD_1 src1_sel:DWORD
	s_mov_b32 s25, 0xbb29
	s_movk_i32 s11, 0x2de8
	v_fma_f16 v23, v52, s9, v24
	v_mul_f16_e32 v33, 0xbbf7, v19
	s_movk_i32 s10, 0x3722
	v_add_f16_e32 v23, v23, v20
	v_fma_f16 v20, v18, s11, -v33
	v_mul_f16_sdwa v37, v14, s25 dst_sel:DWORD dst_unused:UNUSED_PAD src0_sel:WORD_1 src1_sel:DWORD
	s_mov_b32 s14, 0xba62
	v_add_f16_e32 v27, v20, v22
	v_fma_f16 v20, v17, s10, v37
	s_mov_b32 s15, 0xb8d2
	v_mul_f16_sdwa v38, v19, s14 dst_sel:DWORD dst_unused:UNUSED_PAD src0_sel:WORD_1 src1_sel:DWORD
	v_add_f16_e32 v20, v20, v0
	v_fma_f16 v22, v52, s15, v38
	v_mul_f16_e32 v61, 0xbb29, v14
	v_add_f16_e32 v28, v22, v20
	v_fma_f16 v20, v46, s10, -v61
	v_mul_f16_e32 v59, 0xba62, v19
	s_mov_b32 s28, 0xbbf7
	v_add_f16_sdwa v20, v20, v0 dst_sel:DWORD dst_unused:UNUSED_PAD src0_sel:DWORD src1_sel:WORD_1
	v_fma_f16 v22, v18, s15, -v59
	v_mul_f16_sdwa v71, v14, s28 dst_sel:DWORD dst_unused:UNUSED_PAD src0_sel:WORD_1 src1_sel:DWORD
	s_mov_b32 s16, 0xb1e1
	v_add_f16_e32 v29, v22, v20
	v_fma_f16 v20, v17, s11, v71
	s_mov_b32 s17, 0xbbdd
	v_mul_f16_sdwa v72, v19, s16 dst_sel:DWORD dst_unused:UNUSED_PAD src0_sel:WORD_1 src1_sel:DWORD
	v_add_f16_e32 v20, v20, v0
	v_fma_f16 v22, v52, s17, v72
	v_mul_f16_e32 v80, 0xbbf7, v14
	v_add_f16_e32 v30, v22, v20
	v_fma_f16 v20, v46, s11, -v80
	v_mul_f16_e32 v81, 0xb1e1, v19
	v_add_f16_sdwa v20, v20, v0 dst_sel:DWORD dst_unused:UNUSED_PAD src0_sel:DWORD src1_sel:WORD_1
	v_fma_f16 v22, v18, s17, -v81
	v_add_f16_e32 v32, v22, v20
	v_pk_add_f16 v20, v15, v10 neg_lo:[0,1] neg_hi:[0,1]
	v_pk_add_f16 v22, v10, v15
	v_mul_f16_sdwa v34, v20, s25 dst_sel:DWORD dst_unused:UNUSED_PAD src0_sel:WORD_1 src1_sel:DWORD
	v_fma_f16 v35, v22, s10, v34
	v_lshrrev_b32_e32 v62, 16, v22
	v_mul_f16_e32 v41, 0xba62, v20
	s_movk_i32 s31, 0x31e1
	v_add_f16_e32 v35, v35, v23
	v_fma_f16 v23, v62, s15, -v41
	v_mul_f16_sdwa v55, v20, s31 dst_sel:DWORD dst_unused:UNUSED_PAD src0_sel:WORD_1 src1_sel:DWORD
	v_add_f16_e32 v27, v23, v27
	v_fma_f16 v23, v22, s17, v55
	v_mul_f16_e32 v66, 0x31e1, v20
	s_movk_i32 s29, 0x3bb2
	v_add_f16_e32 v28, v23, v28
	v_fma_f16 v23, v62, s17, -v66
	s_mov_b32 s18, 0xb461
	v_mul_f16_sdwa v78, v20, s29 dst_sel:DWORD dst_unused:UNUSED_PAD src0_sel:WORD_1 src1_sel:DWORD
	v_add_f16_e32 v36, v23, v29
	v_fma_f16 v23, v22, s18, v78
	v_mul_f16_e32 v88, 0x3bb2, v20
	v_add_f16_e32 v30, v23, v30
	v_fma_f16 v23, v62, s18, -v88
	v_add_f16_e32 v32, v23, v32
	v_pk_add_f16 v23, v12, v9 neg_lo:[0,1] neg_hi:[0,1]
	v_pk_add_f16 v29, v9, v12
	v_mul_f16_sdwa v39, v23, s28 dst_sel:DWORD dst_unused:UNUSED_PAD src0_sel:WORD_1 src1_sel:DWORD
	v_fma_f16 v40, v29, s11, v39
	v_lshrrev_b32_e32 v65, 16, v29
	v_mul_f16_e32 v56, 0xb1e1, v23
	v_add_f16_e32 v40, v40, v35
	v_fma_f16 v35, v65, s17, -v56
	v_mul_f16_sdwa v60, v23, s29 dst_sel:DWORD dst_unused:UNUSED_PAD src0_sel:WORD_1 src1_sel:DWORD
	v_add_f16_e32 v27, v35, v27
	v_fma_f16 v35, v29, s18, v60
	v_mul_f16_e32 v73, 0x3bb2, v23
	s_movk_i32 s20, 0x35c8
	v_add_f16_e32 v28, v35, v28
	v_fma_f16 v35, v65, s18, -v73
	v_mul_f16_sdwa v85, v23, s20 dst_sel:DWORD dst_unused:UNUSED_PAD src0_sel:WORD_1 src1_sel:DWORD
	v_add_f16_e32 v36, v35, v36
	v_fma_f16 v35, v29, s8, v85
	v_mul_f16_e32 v97, 0x35c8, v23
	v_add_f16_e32 v30, v35, v30
	v_fma_f16 v35, v65, s8, -v97
	v_add_f16_e32 v42, v35, v32
	s_mov_b32 s19, 0xbbb2
	v_pk_add_f16 v32, v13, v8 neg_lo:[0,1] neg_hi:[0,1]
	v_pk_add_f16 v35, v8, v13
	v_mul_f16_sdwa v54, v32, s19 dst_sel:DWORD dst_unused:UNUSED_PAD src0_sel:WORD_1 src1_sel:DWORD
	v_fma_f16 v43, v35, s18, v54
	s_mov_b32 s22, 0xbacd
	v_lshrrev_b32_e32 v70, 16, v35
	v_mul_f16_e32 v64, 0x3836, v32
	s_movk_i32 s21, 0x3964
	v_add_f16_e32 v43, v43, v40
	v_fma_f16 v40, v70, s22, -v64
	v_mul_f16_sdwa v67, v32, s21 dst_sel:DWORD dst_unused:UNUSED_PAD src0_sel:WORD_1 src1_sel:DWORD
	v_add_f16_e32 v27, v40, v27
	v_fma_f16 v40, v35, s9, v67
	v_mul_f16_e32 v79, 0x3964, v32
	v_add_f16_e32 v28, v40, v28
	v_fma_f16 v40, v70, s9, -v79
	v_mul_f16_sdwa v95, v32, s25 dst_sel:DWORD dst_unused:UNUSED_PAD src0_sel:WORD_1 src1_sel:DWORD
	v_add_f16_e32 v44, v40, v36
	v_fma_f16 v36, v35, s10, v95
	v_mul_f16_e32 v109, 0xbb29, v32
	v_add_f16_e32 v30, v36, v30
	v_fma_f16 v36, v70, s10, -v109
	v_add_f16_e32 v42, v36, v42
	v_pk_add_f16 v36, v2, v7 neg_lo:[0,1] neg_hi:[0,1]
	v_pk_add_f16 v40, v7, v2
	v_mul_f16_sdwa v63, v36, s14 dst_sel:DWORD dst_unused:UNUSED_PAD src0_sel:WORD_1 src1_sel:DWORD
	v_fma_f16 v45, v40, s15, v63
	v_lshrrev_b32_e32 v77, 16, v40
	v_mul_f16_e32 v69, 0x3bb2, v36
	v_add_f16_e32 v43, v45, v43
	v_fma_f16 v45, v77, s18, -v69
	v_mul_f16_sdwa v74, v36, s24 dst_sel:DWORD dst_unused:UNUSED_PAD src0_sel:WORD_1 src1_sel:DWORD
	v_add_f16_e32 v27, v45, v27
	v_fma_f16 v45, v40, s8, v74
	v_mul_f16_e32 v86, 0xb5c8, v36
	s_mov_b32 s23, 0xb836
	v_add_f16_e32 v28, v45, v28
	v_fma_f16 v45, v77, s8, -v86
	v_mul_f16_sdwa v105, v36, s23 dst_sel:DWORD dst_unused:UNUSED_PAD src0_sel:WORD_1 src1_sel:DWORD
	v_add_f16_e32 v44, v45, v44
	v_fma_f16 v45, v40, s22, v105
	v_mul_f16_e32 v112, 0xb836, v36
	v_add_f16_e32 v30, v45, v30
	v_fma_f16 v45, v77, s22, -v112
	v_add_f16_e32 v45, v45, v42
	v_pk_add_f16 v42, v3, v6 neg_lo:[0,1] neg_hi:[0,1]
	v_pk_add_f16 v53, v6, v3
	v_mul_f16_sdwa v68, v42, s23 dst_sel:DWORD dst_unused:UNUSED_PAD src0_sel:WORD_1 src1_sel:DWORD
	v_fma_f16 v49, v53, s22, v68
	v_lshrrev_b32_e32 v83, 16, v53
	v_mul_f16_e32 v76, 0x3b29, v42
	v_add_f16_e32 v43, v49, v43
	v_fma_f16 v49, v83, s10, -v76
	v_mul_f16_sdwa v82, v42, s28 dst_sel:DWORD dst_unused:UNUSED_PAD src0_sel:WORD_1 src1_sel:DWORD
	v_add_f16_e32 v49, v49, v27
	v_fma_f16 v27, v53, s11, v82
	v_mul_f16_e32 v94, 0xbbf7, v42
	s_movk_i32 s33, 0x3a62
	v_add_f16_e32 v27, v27, v28
	v_fma_f16 v28, v83, s11, -v94
	v_mul_f16_sdwa v111, v42, s33 dst_sel:DWORD dst_unused:UNUSED_PAD src0_sel:WORD_1 src1_sel:DWORD
	v_add_f16_e32 v44, v28, v44
	v_fma_f16 v28, v53, s15, v111
	v_mul_f16_e32 v114, 0x3a62, v42
	v_pk_add_f16 v57, v4, v5 neg_lo:[0,1] neg_hi:[0,1]
	v_add_f16_e32 v30, v28, v30
	v_fma_f16 v28, v83, s15, -v114
	v_pk_add_f16 v58, v5, v4
	v_mul_f16_sdwa v75, v57, s16 dst_sel:DWORD dst_unused:UNUSED_PAD src0_sel:WORD_1 src1_sel:DWORD
	v_add_f16_e32 v45, v28, v45
	v_fma_f16 v28, v58, s17, v75
	v_mul_f16_sdwa v99, v57, s23 dst_sel:DWORD dst_unused:UNUSED_PAD src0_sel:WORD_1 src1_sel:DWORD
	v_add_f16_e32 v50, v28, v43
	v_fma_f16 v43, v58, s22, v99
	v_lshrrev_b32_e32 v110, 16, v58
	v_mul_f16_e32 v98, 0x35c8, v57
	s_mov_b32 s4, 0x3b7639e9
	v_add_f16_e32 v27, v43, v27
	v_fma_f16 v43, v110, s8, -v98
	v_mul_f16_e32 v113, 0xb836, v57
	s_mov_b32 s5, 0xb964b5c8
	s_mov_b32 s30, 0xbbf7b964
	v_pk_mul_f16 v51, v17, s4
	v_add_f16_e32 v43, v43, v49
	v_fma_f16 v49, v110, s22, -v113
	v_mul_f16_e32 v116, 0x3964, v57
	s_mov_b32 s26, 0x2de839e9
	s_mov_b32 s34, 0x3722b8d2
	v_pk_mul_f16 v101, v19, s30
	v_add_f16_e32 v44, v49, v44
	v_fma_f16 v49, v110, s9, -v116
	v_pk_fma_f16 v100, v14, s5, v51 op_sel:[0,0,1] op_sel_hi:[1,1,0] neg_lo:[1,0,0] neg_hi:[1,0,0]
	s_mov_b32 s35, 0xba62bb29
	s_mov_b32 s36, 0x2de8bbdd
	v_pk_fma_f16 v84, v14, s5, v51 op_sel:[0,0,1] op_sel_hi:[1,1,0]
	v_pk_fma_f16 v87, v18, s26, v101
	v_pk_mul_f16 v102, v22, s34
	v_add_f16_e32 v45, v49, v45
	v_pk_fma_f16 v101, v18, s26, v101 neg_lo:[0,0,1] neg_hi:[0,0,1]
	v_add_f16_sdwa v49, v100, v0 dst_sel:DWORD dst_unused:UNUSED_PAD src0_sel:DWORD src1_sel:WORD_1
	s_mov_b32 s37, 0xb1e1bbf7
	s_mov_b32 s38, 0xb461bacd
	v_add_f16_sdwa v28, v84, v0 dst_sel:DWORD dst_unused:UNUSED_PAD src0_sel:WORD_1 src1_sel:DWORD
	v_pk_fma_f16 v89, v20, s35, v102 op_sel:[0,0,1] op_sel_hi:[1,1,0]
	v_pk_mul_f16 v103, v29, s36
	v_pk_fma_f16 v102, v20, s35, v102 op_sel:[0,0,1] op_sel_hi:[1,1,0] neg_lo:[1,0,0] neg_hi:[1,0,0]
	v_add_f16_e32 v49, v101, v49
	s_mov_b32 s39, 0x3836bbb2
	s_mov_b32 s40, 0xb8d2b461
	v_add_f16_sdwa v28, v87, v28 dst_sel:DWORD dst_unused:UNUSED_PAD src0_sel:WORD_1 src1_sel:DWORD
	v_pk_fma_f16 v90, v23, s37, v103 op_sel:[0,0,1] op_sel_hi:[1,1,0]
	v_pk_mul_f16 v104, v35, s38
	v_pk_fma_f16 v103, v23, s37, v103 op_sel:[0,0,1] op_sel_hi:[1,1,0] neg_lo:[1,0,0] neg_hi:[1,0,0]
	v_add_f16_e32 v49, v102, v49
	s_mov_b32 s41, 0x3bb2ba62
	s_mov_b32 s42, 0xbacd3722
	v_add_f16_sdwa v28, v89, v28 dst_sel:DWORD dst_unused:UNUSED_PAD src0_sel:WORD_1 src1_sel:DWORD
	v_pk_fma_f16 v91, v32, s39, v104 op_sel:[0,0,1] op_sel_hi:[1,1,0]
	v_pk_mul_f16 v106, v40, s40
	v_pk_fma_f16 v104, v32, s39, v104 op_sel:[0,0,1] op_sel_hi:[1,1,0] neg_lo:[1,0,0] neg_hi:[1,0,0]
	v_add_f16_e32 v49, v103, v49
	s_mov_b32 s43, 0x3b29b836
	s_mov_b32 s44, 0xbbdd3b76
	v_add_f16_sdwa v28, v90, v28 dst_sel:DWORD dst_unused:UNUSED_PAD src0_sel:WORD_1 src1_sel:DWORD
	v_pk_fma_f16 v92, v36, s41, v106 op_sel:[0,0,1] op_sel_hi:[1,1,0]
	v_pk_mul_f16 v107, v53, s42
	v_pk_fma_f16 v106, v36, s41, v106 op_sel:[0,0,1] op_sel_hi:[1,1,0] neg_lo:[1,0,0] neg_hi:[1,0,0]
	v_add_f16_e32 v49, v104, v49
	s_mov_b32 s45, 0x35c8b1e1
	v_add_f16_sdwa v28, v91, v28 dst_sel:DWORD dst_unused:UNUSED_PAD src0_sel:WORD_1 src1_sel:DWORD
	v_pk_fma_f16 v93, v42, s43, v107 op_sel:[0,0,1] op_sel_hi:[1,1,0]
	v_pk_mul_f16 v108, v58, s44
	v_pk_fma_f16 v107, v42, s43, v107 op_sel:[0,0,1] op_sel_hi:[1,1,0] neg_lo:[1,0,0] neg_hi:[1,0,0]
	v_add_f16_e32 v49, v106, v49
	v_add_f16_sdwa v28, v92, v28 dst_sel:DWORD dst_unused:UNUSED_PAD src0_sel:WORD_1 src1_sel:DWORD
	v_pk_fma_f16 v96, v57, s45, v108 op_sel:[0,0,1] op_sel_hi:[1,1,0]
	v_pk_fma_f16 v108, v57, s45, v108 op_sel:[0,0,1] op_sel_hi:[1,1,0] neg_lo:[1,0,0] neg_hi:[1,0,0]
	v_add_f16_e32 v49, v107, v49
	v_mul_f16_sdwa v115, v57, s21 dst_sel:DWORD dst_unused:UNUSED_PAD src0_sel:WORD_1 src1_sel:DWORD
	v_add_f16_sdwa v28, v93, v28 dst_sel:DWORD dst_unused:UNUSED_PAD src0_sel:WORD_1 src1_sel:DWORD
	v_add_f16_e32 v176, v108, v49
	v_fma_f16 v49, v58, s9, v115
	v_add_f16_sdwa v28, v96, v28 dst_sel:DWORD dst_unused:UNUSED_PAD src0_sel:WORD_1 src1_sel:DWORD
	s_movk_i32 s34, 0x3836
	s_movk_i32 s26, 0x3b29
	v_add_f16_e32 v30, v49, v30
	v_mul_lo_u16_e32 v26, 17, v172
	s_barrier
	s_and_saveexec_b64 s[4:5], vcc
	s_cbranch_execz .LBB0_7
; %bb.6:
	v_mul_f16_e32 v117, 0xb461, v46
	v_fma_f16 v118, v14, s29, v117
	v_mul_f16_e32 v119, 0xbacd, v18
	v_add_f16_sdwa v118, v118, v0 dst_sel:DWORD dst_unused:UNUSED_PAD src0_sel:DWORD src1_sel:WORD_1
	v_fma_f16 v120, v19, s23, v119
	v_add_f16_e32 v118, v120, v118
	v_mul_f16_e32 v120, 0x39e9, v62
	v_fma_f16 v121, v20, s27, v120
	v_add_f16_e32 v118, v121, v118
	v_mul_f16_e32 v121, 0x3722, v65
	;; [unrolled: 3-line block ×6, first 2 shown]
	v_fma_f16 v126, v57, s33, v125
	v_add_f16_e32 v118, v126, v118
	v_mul_f16_sdwa v126, v14, s19 dst_sel:DWORD dst_unused:UNUSED_PAD src0_sel:WORD_1 src1_sel:DWORD
	v_fma_f16 v127, v17, s18, v126
	v_mul_f16_sdwa v128, v19, s34 dst_sel:DWORD dst_unused:UNUSED_PAD src0_sel:WORD_1 src1_sel:DWORD
	v_add_f16_e32 v127, v127, v0
	v_fma_f16 v129, v52, s22, v128
	v_add_f16_e32 v127, v129, v127
	v_mul_f16_sdwa v129, v20, s21 dst_sel:DWORD dst_unused:UNUSED_PAD src0_sel:WORD_1 src1_sel:DWORD
	v_fma_f16 v130, v22, s9, v129
	v_add_f16_e32 v127, v130, v127
	v_mul_f16_sdwa v130, v23, s25 dst_sel:DWORD dst_unused:UNUSED_PAD src0_sel:WORD_1 src1_sel:DWORD
	;; [unrolled: 3-line block ×3, first 2 shown]
	v_fma_f16 v132, v35, s17, v131
	s_movk_i32 s30, 0x3bf7
	v_fma_f16 v117, v14, s19, v117
	v_add_f16_e32 v127, v132, v127
	v_mul_f16_sdwa v132, v36, s30 dst_sel:DWORD dst_unused:UNUSED_PAD src0_sel:WORD_1 src1_sel:DWORD
	v_add_f16_sdwa v117, v117, v0 dst_sel:DWORD dst_unused:UNUSED_PAD src0_sel:DWORD src1_sel:WORD_1
	v_fma_f16 v119, v19, s34, v119
	v_fma_f16 v133, v40, s11, v132
	v_add_f16_e32 v117, v119, v117
	v_fma_f16 v119, v20, s21, v120
	v_add_f16_e32 v127, v133, v127
	v_mul_f16_sdwa v133, v42, s24 dst_sel:DWORD dst_unused:UNUSED_PAD src0_sel:WORD_1 src1_sel:DWORD
	v_add_f16_e32 v117, v119, v117
	v_fma_f16 v119, v23, s25, v121
	v_fma_f16 v134, v53, s8, v133
	v_add_f16_e32 v117, v119, v117
	v_fma_f16 v119, v32, s16, v122
	v_add_f16_e32 v127, v134, v127
	v_mul_f16_sdwa v134, v57, s14 dst_sel:DWORD dst_unused:UNUSED_PAD src0_sel:WORD_1 src1_sel:DWORD
	v_add_f16_e32 v117, v119, v117
	v_fma_f16 v119, v36, s30, v123
	v_fma_f16 v135, v58, s15, v134
	v_add_f16_e32 v117, v119, v117
	v_fma_f16 v119, v42, s24, v124
	v_add_f16_e32 v127, v135, v127
	v_mul_f16_e32 v135, 0xb8d2, v46
	v_add_f16_e32 v117, v119, v117
	v_fma_f16 v119, v57, s14, v125
	v_fma_f16 v136, v14, s33, v135
	v_mul_f16_e32 v137, 0xb461, v18
	v_add_f16_e32 v117, v119, v117
	v_fma_f16 v119, v17, s18, -v126
	v_add_f16_sdwa v136, v136, v0 dst_sel:DWORD dst_unused:UNUSED_PAD src0_sel:DWORD src1_sel:WORD_1
	v_fma_f16 v138, v19, s19, v137
	v_add_f16_e32 v119, v119, v0
	v_fma_f16 v120, v52, s22, -v128
	v_add_f16_e32 v136, v138, v136
	v_mul_f16_e32 v138, 0x3b76, v62
	v_add_f16_e32 v119, v120, v119
	v_fma_f16 v120, v22, s9, -v129
	v_fma_f16 v139, v20, s20, v138
	v_add_f16_e32 v119, v120, v119
	v_fma_f16 v120, v29, s10, -v130
	v_add_f16_e32 v136, v139, v136
	v_mul_f16_e32 v139, 0xbacd, v65
	v_add_f16_e32 v119, v120, v119
	v_fma_f16 v120, v35, s17, -v131
	;; [unrolled: 7-line block ×3, first 2 shown]
	v_fma_f16 v141, v32, s28, v140
	v_add_f16_e32 v119, v120, v119
	v_fma_f16 v120, v58, s15, -v134
	v_add_f16_e32 v136, v141, v136
	v_mul_f16_e32 v141, 0x39e9, v77
	v_add_f16_e32 v119, v120, v119
	v_mul_f16_e32 v120, 0x2de8, v46
	v_fma_f16 v142, v36, s21, v141
	v_add_f16_e32 v80, v80, v120
	v_mul_f16_e32 v120, 0xbbdd, v18
	v_add_f16_e32 v136, v142, v136
	v_mul_f16_e32 v142, 0xbbdd, v83
	v_add_f16_e32 v81, v81, v120
	v_add_f16_sdwa v80, v80, v0 dst_sel:DWORD dst_unused:UNUSED_PAD src0_sel:DWORD src1_sel:WORD_1
	v_fma_f16 v143, v42, s31, v142
	v_add_f16_e32 v80, v81, v80
	v_mul_f16_e32 v81, 0xb461, v62
	v_add_f16_e32 v136, v143, v136
	v_mul_f16_e32 v143, 0x3722, v110
	v_add_f16_e32 v81, v88, v81
	v_fma_f16 v144, v57, s25, v143
	v_add_f16_e32 v80, v81, v80
	v_mul_f16_e32 v81, 0x3b76, v65
	v_add_f16_e32 v136, v144, v136
	v_mul_f16_sdwa v144, v14, s14 dst_sel:DWORD dst_unused:UNUSED_PAD src0_sel:WORD_1 src1_sel:DWORD
	v_add_f16_e32 v81, v97, v81
	v_fma_f16 v145, v17, s15, v144
	v_mul_f16_sdwa v146, v19, s29 dst_sel:DWORD dst_unused:UNUSED_PAD src0_sel:WORD_1 src1_sel:DWORD
	v_add_f16_e32 v80, v81, v80
	v_mul_f16_e32 v81, 0x3722, v70
	v_add_f16_e32 v145, v145, v0
	v_fma_f16 v147, v52, s18, v146
	v_add_f16_e32 v81, v109, v81
	v_add_f16_e32 v145, v147, v145
	v_mul_f16_sdwa v147, v20, s24 dst_sel:DWORD dst_unused:UNUSED_PAD src0_sel:WORD_1 src1_sel:DWORD
	v_add_f16_e32 v80, v81, v80
	v_mul_f16_e32 v81, 0xbacd, v77
	v_fma_f16 v148, v22, s8, v147
	v_add_f16_e32 v81, v112, v81
	v_add_f16_e32 v145, v148, v145
	v_mul_f16_sdwa v148, v23, s23 dst_sel:DWORD dst_unused:UNUSED_PAD src0_sel:WORD_1 src1_sel:DWORD
	v_add_f16_e32 v80, v81, v80
	v_mul_f16_e32 v81, 0xb8d2, v83
	;; [unrolled: 6-line block ×4, first 2 shown]
	v_fma_f16 v151, v40, s9, v150
	v_sub_f16_e32 v71, v81, v71
	v_mul_f16_e32 v81, 0xbbdd, v52
	v_add_f16_e32 v145, v151, v145
	v_mul_f16_sdwa v151, v42, s16 dst_sel:DWORD dst_unused:UNUSED_PAD src0_sel:WORD_1 src1_sel:DWORD
	v_sub_f16_e32 v72, v81, v72
	v_add_f16_e32 v71, v71, v0
	v_fma_f16 v152, v53, s17, v151
	v_add_f16_e32 v71, v72, v71
	v_mul_f16_e32 v72, 0xb461, v22
	v_add_f16_e32 v145, v152, v145
	v_mul_f16_sdwa v152, v57, s26 dst_sel:DWORD dst_unused:UNUSED_PAD src0_sel:WORD_1 src1_sel:DWORD
	v_sub_f16_e32 v72, v72, v78
	v_fma_f16 v153, v58, s10, v152
	v_add_f16_e32 v71, v72, v71
	v_mul_f16_e32 v72, 0x3b76, v29
	v_add_f16_e32 v145, v153, v145
	v_mul_f16_e32 v153, 0xbacd, v46
	v_sub_f16_e32 v72, v72, v85
	v_fma_f16 v154, v14, s34, v153
	v_mul_f16_e32 v155, 0x3722, v18
	v_add_f16_e32 v71, v72, v71
	v_mul_f16_e32 v72, 0x3722, v35
	v_add_f16_sdwa v154, v154, v0 dst_sel:DWORD dst_unused:UNUSED_PAD src0_sel:DWORD src1_sel:WORD_1
	v_fma_f16 v156, v19, s25, v155
	v_sub_f16_e32 v72, v72, v95
	v_add_f16_e32 v154, v156, v154
	v_mul_f16_e32 v156, 0x2de8, v62
	v_add_f16_e32 v71, v72, v71
	v_mul_f16_e32 v72, 0xbacd, v40
	v_fma_f16 v157, v20, s30, v156
	v_sub_f16_e32 v72, v72, v105
	v_add_f16_e32 v154, v157, v154
	v_mul_f16_e32 v157, 0xb8d2, v65
	v_add_f16_e32 v71, v72, v71
	v_mul_f16_e32 v72, 0xb8d2, v53
	;; [unrolled: 6-line block ×4, first 2 shown]
	v_mul_f16_e32 v46, 0x3722, v46
	v_fma_f16 v160, v36, s31, v159
	v_add_f16_e32 v46, v61, v46
	v_mul_f16_e32 v61, 0xb8d2, v18
	v_add_f16_e32 v154, v160, v154
	v_mul_f16_e32 v160, 0x39e9, v83
	v_add_f16_e32 v59, v59, v61
	v_add_f16_sdwa v46, v46, v0 dst_sel:DWORD dst_unused:UNUSED_PAD src0_sel:DWORD src1_sel:WORD_1
	v_fma_f16 v161, v42, s27, v160
	v_add_f16_e32 v46, v59, v46
	v_mul_f16_e32 v59, 0xbbdd, v62
	v_add_f16_e32 v154, v161, v154
	v_mul_f16_e32 v161, 0xb461, v110
	v_add_f16_e32 v59, v66, v59
	v_fma_f16 v162, v57, s29, v161
	v_fma_f16 v153, v14, s23, v153
	v_fma_f16 v135, v14, s14, v135
	v_add_f16_e32 v46, v59, v46
	v_mul_f16_e32 v59, 0xb461, v65
	v_add_f16_e32 v154, v162, v154
	v_mul_f16_sdwa v162, v14, s23 dst_sel:DWORD dst_unused:UNUSED_PAD src0_sel:WORD_1 src1_sel:DWORD
	v_mul_f16_sdwa v164, v19, s26 dst_sel:DWORD dst_unused:UNUSED_PAD src0_sel:WORD_1 src1_sel:DWORD
	v_add_f16_sdwa v153, v153, v0 dst_sel:DWORD dst_unused:UNUSED_PAD src0_sel:DWORD src1_sel:WORD_1
	v_fma_f16 v155, v19, s26, v155
	v_add_f16_sdwa v135, v135, v0 dst_sel:DWORD dst_unused:UNUSED_PAD src0_sel:DWORD src1_sel:WORD_1
	v_fma_f16 v137, v19, s29, v137
	v_mul_f16_e32 v61, 0x3722, v17
	v_add_f16_e32 v59, v73, v59
	v_mul_f16_e32 v73, 0x2de8, v18
	v_add_f16_e32 v25, v25, v72
	v_fma_f16 v163, v17, s22, v162
	v_fma_f16 v165, v52, s10, v164
	v_add_f16_e32 v153, v155, v153
	v_fma_f16 v155, v20, s28, v156
	v_fma_f16 v156, v52, s10, -v164
	v_add_f16_e32 v135, v137, v135
	v_fma_f16 v137, v20, s24, v138
	v_fma_f16 v138, v52, s18, -v146
	v_mul_f16_e32 v66, 0x39e9, v52
	v_mul_f16_e32 v52, 0xb8d2, v52
	v_add_f16_e32 v46, v59, v46
	v_mul_f16_e32 v59, 0x39e9, v70
	v_mul_f16_e32 v62, 0xb8d2, v62
	v_sub_f16_e32 v37, v61, v37
	v_add_f16_sdwa v25, v25, v0 dst_sel:DWORD dst_unused:UNUSED_PAD src0_sel:DWORD src1_sel:WORD_1
	v_add_f16_e32 v33, v33, v73
	v_add_f16_e32 v163, v163, v0
	;; [unrolled: 1-line block ×3, first 2 shown]
	v_mul_f16_e32 v85, 0xbbdd, v22
	v_mul_f16_e32 v65, 0xbbdd, v65
	v_sub_f16_e32 v38, v52, v38
	v_add_f16_e32 v37, v37, v0
	v_add_f16_e32 v25, v33, v25
	;; [unrolled: 1-line block ×4, first 2 shown]
	v_mul_f16_sdwa v165, v20, s28 dst_sel:DWORD dst_unused:UNUSED_PAD src0_sel:WORD_1 src1_sel:DWORD
	v_add_f16_e32 v153, v155, v153
	v_fma_f16 v155, v23, s33, v157
	v_add_f16_e32 v135, v137, v135
	v_fma_f16 v137, v23, s23, v139
	v_alignbit_b32 v78, v0, v0, 16
	v_add_f16_e32 v46, v59, v46
	v_mul_f16_e32 v59, 0x3b76, v77
	v_mul_f16_e32 v88, 0xb461, v29
	;; [unrolled: 1-line block ×3, first 2 shown]
	v_add_f16_e32 v37, v38, v37
	v_sub_f16_e32 v55, v85, v55
	v_add_f16_e32 v25, v33, v25
	v_add_f16_e32 v33, v56, v65
	v_fma_f16 v166, v22, s11, v165
	v_add_f16_e32 v153, v155, v153
	v_fma_f16 v155, v32, s24, v158
	;; [unrolled: 2-line block ×3, first 2 shown]
	v_alignbit_b32 v31, v31, v31, 16
	v_add_f16_e32 v59, v86, v59
	v_mul_f16_e32 v61, 0x39e9, v35
	v_mul_f16_e32 v77, 0xb461, v77
	v_add_f16_e32 v37, v55, v37
	v_sub_f16_e32 v60, v88, v60
	v_add_f16_e32 v25, v33, v25
	v_add_f16_e32 v33, v64, v70
	v_pk_add_f16 v1, v1, v78 op_sel:[0,1] op_sel_hi:[1,0]
	v_add_f16_e32 v163, v166, v163
	v_mul_f16_sdwa v166, v23, s33 dst_sel:DWORD dst_unused:UNUSED_PAD src0_sel:WORD_1 src1_sel:DWORD
	v_add_f16_e32 v153, v155, v153
	v_fma_f16 v155, v36, s16, v159
	v_add_f16_e32 v135, v137, v135
	v_fma_f16 v137, v36, s27, v141
	v_add_f16_e32 v46, v59, v46
	v_mul_f16_e32 v59, 0x2de8, v83
	v_mul_f16_e32 v38, 0x3b76, v40
	v_mul_f16_e32 v83, 0x3722, v83
	v_add_f16_e32 v37, v60, v37
	v_sub_f16_e32 v61, v61, v67
	v_add_f16_e32 v25, v33, v25
	v_add_f16_e32 v33, v69, v77
	v_pk_add_f16 v1, v31, v1
	v_fma_f16 v167, v29, s15, v166
	v_add_f16_e32 v153, v155, v153
	v_fma_f16 v155, v42, s21, v160
	v_add_f16_e32 v135, v137, v135
	;; [unrolled: 2-line block ×3, first 2 shown]
	v_mul_f16_e32 v55, 0x2de8, v53
	v_mul_f16_e32 v94, 0x3b76, v110
	v_add_f16_e32 v37, v61, v37
	v_sub_f16_e32 v38, v38, v74
	v_add_f16_e32 v25, v33, v25
	v_add_f16_e32 v33, v76, v83
	v_pk_add_f16 v1, v15, v1
	v_add_f16_e32 v163, v167, v163
	v_mul_f16_sdwa v167, v32, s24 dst_sel:DWORD dst_unused:UNUSED_PAD src0_sel:WORD_1 src1_sel:DWORD
	v_add_f16_e32 v153, v155, v153
	v_fma_f16 v155, v57, s19, v161
	v_add_f16_e32 v135, v137, v135
	v_fma_f16 v137, v57, s26, v143
	v_mul_f16_e32 v81, 0x3b76, v17
	v_mul_f16_e32 v60, 0xbacd, v58
	v_add_f16_e32 v37, v38, v37
	v_sub_f16_e32 v38, v55, v82
	v_add_f16_e32 v25, v33, v25
	v_add_f16_e32 v33, v98, v94
	s_mov_b32 s24, 0xffff
	v_pk_add_f16 v1, v12, v1
	v_add_f16_e32 v153, v155, v153
	v_fma_f16 v155, v17, s22, -v162
	v_add_f16_e32 v135, v137, v135
	v_fma_f16 v137, v17, s15, -v144
	v_add_f16_e32 v37, v38, v37
	v_sub_f16_e32 v38, v60, v99
	v_add_f16_e32 v25, v33, v25
	v_bfi_b32 v33, s24, v84, v100
	v_sub_f16_e32 v21, v81, v21
	v_pk_add_f16 v1, v13, v1
	v_add_f16_e32 v155, v155, v0
	v_add_f16_e32 v137, v137, v0
	v_mul_f16_e32 v79, 0x3722, v22
	v_add_f16_e32 v46, v59, v46
	v_mul_f16_e32 v59, 0xbacd, v110
	v_add_f16_e32 v37, v38, v37
	v_bfi_b32 v38, s24, v87, v101
	v_add_f16_e32 v0, v21, v0
	v_sub_f16_e32 v21, v66, v24
	v_pk_add_f16 v1, v2, v1
	v_pk_add_f16 v2, v33, v78
	v_mul_f16_e32 v86, 0x2de8, v29
	v_add_f16_e32 v59, v113, v59
	v_bfi_b32 v41, s24, v89, v102
	v_add_f16_e32 v0, v21, v0
	v_sub_f16_e32 v21, v79, v34
	v_pk_add_f16 v2, v38, v2
	v_add_f16_e32 v46, v59, v46
	v_mul_f16_e32 v59, 0xb461, v35
	v_bfi_b32 v55, s24, v90, v103
	v_add_f16_e32 v0, v21, v0
	v_sub_f16_e32 v21, v86, v39
	v_pk_add_f16 v1, v3, v1
	v_pk_add_f16 v2, v41, v2
	v_fma_f16 v168, v35, s8, v167
	v_add_f16_e32 v137, v138, v137
	v_fma_f16 v138, v22, s8, -v147
	v_mul_f16_e32 v52, 0xb8d2, v40
	v_bfi_b32 v56, s24, v91, v104
	v_add_f16_e32 v0, v21, v0
	v_sub_f16_e32 v21, v59, v54
	v_pk_add_f16 v1, v4, v1
	v_pk_add_f16 v2, v55, v2
	v_add_f16_e32 v163, v168, v163
	v_mul_f16_sdwa v168, v36, s16 dst_sel:DWORD dst_unused:UNUSED_PAD src0_sel:WORD_1 src1_sel:DWORD
	v_add_f16_e32 v155, v156, v155
	v_fma_f16 v156, v22, s11, -v165
	v_add_f16_e32 v137, v138, v137
	v_fma_f16 v138, v29, s22, -v148
	v_mul_f16_e32 v85, 0xbacd, v53
	v_bfi_b32 v60, s24, v92, v106
	v_add_f16_e32 v0, v21, v0
	v_sub_f16_e32 v21, v52, v63
	v_pk_add_f16 v1, v5, v1
	v_pk_add_f16 v2, v56, v2
	v_fma_f16 v169, v40, s17, v168
	v_add_f16_e32 v155, v156, v155
	v_fma_f16 v156, v29, s15, -v166
	v_add_f16_e32 v137, v138, v137
	v_fma_f16 v138, v35, s11, -v149
	v_mul_f16_e32 v88, 0xbbdd, v58
	v_bfi_b32 v61, s24, v93, v107
	v_add_f16_e32 v0, v21, v0
	v_sub_f16_e32 v21, v85, v68
	v_pk_add_f16 v1, v6, v1
	v_pk_add_f16 v2, v60, v2
	v_add_f16_e32 v163, v169, v163
	v_mul_f16_sdwa v169, v42, s21 dst_sel:DWORD dst_unused:UNUSED_PAD src0_sel:WORD_1 src1_sel:DWORD
	v_add_f16_e32 v155, v156, v155
	v_fma_f16 v156, v35, s8, -v167
	v_add_f16_e32 v137, v138, v137
	v_fma_f16 v138, v40, s9, -v150
	v_bfi_b32 v62, s24, v96, v108
	v_add_f16_e32 v0, v21, v0
	v_sub_f16_e32 v21, v88, v75
	v_pk_add_f16 v1, v7, v1
	v_pk_add_f16 v2, v61, v2
	v_fma_f16 v170, v53, s9, v169
	v_add_f16_e32 v155, v156, v155
	v_fma_f16 v156, v40, s17, -v168
	v_add_f16_e32 v137, v138, v137
	v_fma_f16 v138, v53, s17, -v151
	v_add_f16_e32 v0, v21, v0
	v_pk_add_f16 v1, v8, v1
	v_pk_add_f16 v2, v62, v2
	v_add_f16_e32 v163, v170, v163
	v_mul_f16_sdwa v170, v57, s19 dst_sel:DWORD dst_unused:UNUSED_PAD src0_sel:WORD_1 src1_sel:DWORD
	v_add_f16_e32 v155, v156, v155
	v_fma_f16 v156, v53, s9, -v169
	v_add_f16_e32 v137, v138, v137
	v_fma_f16 v138, v58, s10, -v152
	v_lshlrev_b32_e32 v12, 2, v26
	v_pk_add_f16 v1, v9, v1
	v_alignbit_b32 v3, v25, v2, 16
	v_pack_b32_f16 v0, v0, v2
	v_add_f16_e32 v155, v156, v155
	v_fma_f16 v156, v58, s18, -v170
	v_add_f16_e32 v137, v138, v137
	v_pk_add_f16 v1, v10, v1
	ds_write2_b32 v12, v0, v3 offset0:1 offset1:2
	v_pack_b32_f16 v0, v71, v80
	v_pack_b32_f16 v2, v37, v46
	v_add_f16_e32 v155, v156, v155
	v_pk_add_f16 v1, v11, v1
	ds_write2_b32 v12, v2, v0 offset0:3 offset1:4
	v_pack_b32_f16 v0, v137, v135
	v_pack_b32_f16 v2, v119, v117
	v_pk_add_f16 v1, v16, v1
	ds_write2_b32 v12, v2, v0 offset0:5 offset1:6
	v_pack_b32_f16 v0, v155, v153
	ds_write2_b32 v12, v1, v0 offset1:7
	v_pk_mul_f16 v0, v17, s17 op_sel_hi:[1,0]
	v_pk_fma_f16 v1, v14, s16, v0 op_sel:[0,0,1] op_sel_hi:[1,0,0] neg_lo:[1,0,0] neg_hi:[1,0,0]
	v_pk_mul_f16 v2, v19, s20 op_sel_hi:[1,0]
	v_pk_add_f16 v1, v1, v78
	v_pk_fma_f16 v3, v18, s8, v2 op_sel_hi:[1,0,1] neg_lo:[0,0,1] neg_hi:[0,0,1]
	v_pk_add_f16 v1, v3, v1
	v_pk_mul_f16 v3, v22, s22 op_sel_hi:[1,0]
	v_pk_fma_f16 v4, v20, s23, v3 op_sel:[0,0,1] op_sel_hi:[1,0,0] neg_lo:[1,0,0] neg_hi:[1,0,0]
	v_pk_add_f16 v1, v4, v1
	v_pk_mul_f16 v4, v29, s9 op_sel_hi:[1,0]
	v_pk_fma_f16 v5, v23, s21, v4 op_sel:[0,0,1] op_sel_hi:[1,0,0] neg_lo:[1,0,0] neg_hi:[1,0,0]
	v_pk_add_f16 v1, v5, v1
	v_pk_mul_f16 v5, v35, s15 op_sel_hi:[1,0]
	v_pk_fma_f16 v0, v14, s16, v0 op_sel:[0,0,1] op_sel_hi:[1,0,0]
	v_pk_fma_f16 v6, v32, s14, v5 op_sel:[0,0,1] op_sel_hi:[1,0,0] neg_lo:[1,0,0] neg_hi:[1,0,0]
	v_pk_add_f16 v0, v0, v78
	v_pk_fma_f16 v2, v18, s8, v2 op_sel_hi:[1,0,1]
	v_pk_add_f16 v1, v6, v1
	v_pk_mul_f16 v6, v40, s10 op_sel_hi:[1,0]
	v_pk_add_f16 v0, v2, v0
	v_pk_fma_f16 v2, v20, s23, v3 op_sel:[0,0,1] op_sel_hi:[1,0,0]
	v_pk_fma_f16 v7, v36, s26, v6 op_sel:[0,0,1] op_sel_hi:[1,0,0] neg_lo:[1,0,0] neg_hi:[1,0,0]
	v_pk_add_f16 v0, v2, v0
	v_pk_fma_f16 v2, v23, s21, v4 op_sel:[0,0,1] op_sel_hi:[1,0,0]
	v_pk_add_f16 v1, v7, v1
	v_pk_mul_f16 v7, v53, s18 op_sel_hi:[1,0]
	v_pk_add_f16 v0, v2, v0
	v_pk_fma_f16 v2, v32, s14, v5 op_sel:[0,0,1] op_sel_hi:[1,0,0]
	v_pk_fma_f16 v8, v42, s19, v7 op_sel:[0,0,1] op_sel_hi:[1,0,0] neg_lo:[1,0,0] neg_hi:[1,0,0]
	v_pk_add_f16 v0, v2, v0
	v_pk_fma_f16 v2, v36, s26, v6 op_sel:[0,0,1] op_sel_hi:[1,0,0]
	;; [unrolled: 7-line block ×3, first 2 shown]
	v_fma_f16 v171, v58, s18, v170
	v_pk_add_f16 v1, v9, v1
	v_pk_add_f16 v0, v2, v0
	v_add_f16_e32 v163, v171, v163
	v_alignbit_b32 v2, v1, v0, 16
	v_alignbit_b32 v0, v0, v1, 16
	ds_write2_b32 v12, v0, v2 offset0:8 offset1:9
	v_pack_b32_f16 v0, v145, v136
	v_pack_b32_f16 v1, v163, v154
	s_mov_b32 s8, 0x5040100
	ds_write2_b32 v12, v1, v0 offset0:10 offset1:11
	v_pack_b32_f16 v0, v127, v118
	v_perm_b32 v1, v45, v30, s8
	ds_write2_b32 v12, v0, v1 offset0:12 offset1:13
	v_perm_b32 v0, v43, v28, s8
	v_perm_b32 v1, v44, v27, s8
	ds_write2_b32 v12, v1, v0 offset0:14 offset1:15
	v_perm_b32 v0, v176, v50, s8
	ds_write_b32 v12, v0 offset:64
.LBB0_7:
	s_or_b64 exec, exec, s[4:5]
	s_load_dwordx4 s[8:11], s[0:1], 0x0
	s_movk_i32 s0, 0xf1
	v_mul_lo_u16_sdwa v0, v172, s0 dst_sel:DWORD dst_unused:UNUSED_PAD src0_sel:BYTE_0 src1_sel:DWORD
	v_lshrrev_b16_e32 v0, 12, v0
	v_mul_lo_u16_e32 v1, 17, v0
	v_sub_u16_e32 v1, v172, v1
	v_and_b32_e32 v1, 0xff, v1
	v_mul_u32_u24_e32 v2, 12, v1
	v_lshlrev_b32_e32 v2, 2, v2
	s_waitcnt lgkmcnt(0)
	s_barrier
	global_load_dwordx4 v[4:7], v2, s[2:3]
	global_load_dwordx4 v[8:11], v2, s[2:3] offset:16
	global_load_dwordx4 v[12:15], v2, s[2:3] offset:32
	ds_read2_b32 v[2:3], v48 offset1:136
	v_add_u32_e32 v16, 0x400, v48
	v_add_u32_e32 v18, 0x800, v48
	;; [unrolled: 1-line block ×5, first 2 shown]
	ds_read_b32 v29, v48 offset:6528
	ds_read2_b32 v[16:17], v16 offset0:16 offset1:152
	ds_read2_b32 v[18:19], v18 offset0:32 offset1:168
	;; [unrolled: 1-line block ×5, first 2 shown]
	s_waitcnt lgkmcnt(6)
	v_lshrrev_b32_e32 v31, 16, v3
	s_waitcnt lgkmcnt(4)
	v_lshrrev_b32_e32 v33, 16, v16
	v_lshrrev_b32_e32 v34, 16, v17
	s_waitcnt lgkmcnt(3)
	v_lshrrev_b32_e32 v35, 16, v18
	;; [unrolled: 3-line block ×5, first 2 shown]
	v_lshrrev_b32_e32 v42, 16, v25
	v_lshrrev_b32_e32 v32, 16, v29
	s_movk_i32 s4, 0x3b15
	s_movk_i32 s1, 0x388b
	;; [unrolled: 1-line block ×3, first 2 shown]
	s_mov_b32 s5, 0xb5ac
	s_mov_b32 s14, 0xb9fd
	;; [unrolled: 1-line block ×3, first 2 shown]
	v_mul_u32_u24_e32 v0, 0xdd, v0
	s_waitcnt vmcnt(0)
	s_barrier
	v_mul_f16_sdwa v46, v31, v4 dst_sel:DWORD dst_unused:UNUSED_PAD src0_sel:DWORD src1_sel:WORD_1
	v_mul_f16_sdwa v52, v3, v4 dst_sel:DWORD dst_unused:UNUSED_PAD src0_sel:DWORD src1_sel:WORD_1
	;; [unrolled: 1-line block ×3, first 2 shown]
	v_fma_f16 v3, v3, v4, -v46
	v_mul_f16_sdwa v54, v16, v5 dst_sel:DWORD dst_unused:UNUSED_PAD src0_sel:DWORD src1_sel:WORD_1
	v_mul_f16_sdwa v55, v34, v6 dst_sel:DWORD dst_unused:UNUSED_PAD src0_sel:DWORD src1_sel:WORD_1
	v_fma_f16 v31, v31, v4, v52
	v_fma_f16 v16, v16, v5, -v53
	v_add_f16_e32 v46, v2, v3
	v_mul_f16_sdwa v56, v17, v6 dst_sel:DWORD dst_unused:UNUSED_PAD src0_sel:DWORD src1_sel:WORD_1
	v_mul_f16_sdwa v57, v35, v7 dst_sel:DWORD dst_unused:UNUSED_PAD src0_sel:DWORD src1_sel:WORD_1
	v_fma_f16 v33, v33, v5, v54
	v_fma_f16 v17, v17, v6, -v55
	v_add_f16_sdwa v52, v2, v31 dst_sel:DWORD dst_unused:UNUSED_PAD src0_sel:WORD_1 src1_sel:DWORD
	v_add_f16_e32 v46, v46, v16
	v_mul_f16_sdwa v58, v18, v7 dst_sel:DWORD dst_unused:UNUSED_PAD src0_sel:DWORD src1_sel:WORD_1
	v_mul_f16_sdwa v59, v36, v8 dst_sel:DWORD dst_unused:UNUSED_PAD src0_sel:DWORD src1_sel:WORD_1
	v_fma_f16 v34, v34, v6, v56
	v_fma_f16 v18, v18, v7, -v57
	v_add_f16_e32 v52, v52, v33
	v_add_f16_e32 v46, v46, v17
	v_mul_f16_sdwa v60, v19, v8 dst_sel:DWORD dst_unused:UNUSED_PAD src0_sel:DWORD src1_sel:WORD_1
	v_mul_f16_sdwa v61, v37, v9 dst_sel:DWORD dst_unused:UNUSED_PAD src0_sel:DWORD src1_sel:WORD_1
	v_fma_f16 v35, v35, v7, v58
	v_fma_f16 v19, v19, v8, -v59
	v_add_f16_e32 v52, v52, v34
	;; [unrolled: 6-line block ×7, first 2 shown]
	v_add_f16_e32 v46, v46, v23
	v_mul_f16_sdwa v72, v25, v14 dst_sel:DWORD dst_unused:UNUSED_PAD src0_sel:DWORD src1_sel:WORD_1
	v_mul_f16_sdwa v73, v32, v15 dst_sel:DWORD dst_unused:UNUSED_PAD src0_sel:DWORD src1_sel:WORD_1
	v_mul_f16_sdwa v74, v29, v15 dst_sel:DWORD dst_unused:UNUSED_PAD src0_sel:DWORD src1_sel:WORD_1
	v_fma_f16 v41, v41, v13, v70
	v_fma_f16 v25, v25, v14, -v71
	v_add_f16_e32 v52, v52, v40
	v_add_f16_e32 v46, v46, v24
	v_fma_f16 v42, v42, v14, v72
	v_fma_f16 v29, v29, v15, -v73
	v_fma_f16 v32, v32, v15, v74
	v_add_f16_e32 v52, v52, v41
	v_add_f16_e32 v46, v46, v25
	;; [unrolled: 1-line block ×5, first 2 shown]
	v_sub_f16_e32 v3, v3, v29
	v_sub_f16_e32 v29, v31, v32
	v_add_f16_e32 v54, v52, v32
	v_add_f16_e32 v52, v31, v32
	v_mul_f16_e32 v31, 0xb770, v29
	v_mul_f16_e32 v55, 0xb770, v3
	;; [unrolled: 1-line block ×12, first 2 shown]
	v_fma_f16 v32, v46, s4, -v31
	v_fma_f16 v56, v52, s4, v55
	v_fma_f16 v31, v46, s4, v31
	v_fma_f16 v55, v52, s4, -v55
	v_fma_f16 v58, v46, s1, -v57
	v_fma_f16 v60, v52, s1, v59
	v_fma_f16 v57, v46, s1, v57
	v_fma_f16 v59, v52, s1, -v59
	;; [unrolled: 4-line block ×6, first 2 shown]
	v_add_f16_e32 v32, v2, v32
	v_add_f16_sdwa v56, v2, v56 dst_sel:DWORD dst_unused:UNUSED_PAD src0_sel:WORD_1 src1_sel:DWORD
	v_add_f16_e32 v31, v2, v31
	v_add_f16_sdwa v55, v2, v55 dst_sel:DWORD dst_unused:UNUSED_PAD src0_sel:WORD_1 src1_sel:DWORD
	;; [unrolled: 2-line block ×12, first 2 shown]
	v_add_f16_e32 v3, v16, v25
	v_sub_f16_e32 v16, v16, v25
	v_sub_f16_e32 v25, v33, v42
	v_add_f16_e32 v46, v33, v42
	v_mul_f16_e32 v33, 0xba95, v25
	v_fma_f16 v42, v3, s1, -v33
	v_add_f16_e32 v32, v42, v32
	v_mul_f16_e32 v42, 0xba95, v16
	v_fma_f16 v33, v3, s1, v33
	v_fma_f16 v52, v46, s1, v42
	v_add_f16_e32 v31, v33, v31
	v_fma_f16 v33, v46, s1, -v42
	v_mul_f16_e32 v42, 0xbb7b, v25
	v_add_f16_e32 v52, v52, v56
	v_add_f16_e32 v33, v33, v55
	v_fma_f16 v55, v3, s5, -v42
	v_mul_f16_e32 v56, 0xbb7b, v16
	v_fma_f16 v42, v3, s5, v42
	v_add_f16_e32 v55, v55, v58
	v_fma_f16 v58, v46, s5, v56
	v_add_f16_e32 v42, v42, v57
	v_fma_f16 v56, v46, s5, -v56
	v_mul_f16_e32 v57, 0xb3a8, v25
	v_add_f16_e32 v58, v58, v60
	v_add_f16_e32 v56, v56, v59
	v_fma_f16 v59, v3, s15, -v57
	v_mul_f16_e32 v60, 0xb3a8, v16
	v_fma_f16 v57, v3, s15, v57
	v_add_f16_e32 v59, v59, v62
	;; [unrolled: 10-line block ×3, first 2 shown]
	v_fma_f16 v66, v46, s14, v64
	v_add_f16_e32 v61, v61, v65
	v_fma_f16 v64, v46, s14, -v64
	v_mul_f16_e32 v65, 0x3bf1, v25
	v_add_f16_e32 v66, v66, v68
	v_add_f16_e32 v64, v64, v67
	v_fma_f16 v67, v3, s0, -v65
	v_mul_f16_e32 v68, 0x3bf1, v16
	v_add_f16_e32 v67, v67, v70
	v_fma_f16 v70, v46, s0, v68
	v_fma_f16 v68, v46, s0, -v68
	v_mul_f16_e32 v16, 0x3770, v16
	v_fma_f16 v65, v3, s0, v65
	v_add_f16_e32 v68, v68, v71
	v_mul_f16_e32 v25, 0x3770, v25
	v_fma_f16 v71, v46, s4, v16
	v_fma_f16 v16, v46, s4, -v16
	v_add_f16_e32 v65, v65, v69
	v_fma_f16 v69, v3, s4, -v25
	v_fma_f16 v3, v3, s4, v25
	v_add_f16_e32 v2, v16, v2
	v_add_f16_e32 v16, v17, v24
	v_sub_f16_e32 v17, v17, v24
	v_sub_f16_e32 v24, v34, v41
	v_add_f16_e32 v3, v3, v29
	v_mul_f16_e32 v29, 0xbbf1, v24
	v_add_f16_e32 v25, v34, v41
	v_fma_f16 v34, v16, s0, -v29
	v_add_f16_e32 v32, v34, v32
	v_mul_f16_e32 v34, 0xbbf1, v17
	v_fma_f16 v29, v16, s0, v29
	v_add_f16_e32 v29, v29, v31
	v_fma_f16 v31, v25, s0, -v34
	v_add_f16_e32 v31, v31, v33
	v_mul_f16_e32 v33, 0xb3a8, v24
	v_fma_f16 v41, v25, s0, v34
	v_fma_f16 v34, v16, s15, -v33
	v_mul_f16_e32 v46, 0xb3a8, v17
	v_fma_f16 v33, v16, s15, v33
	v_add_f16_e32 v41, v41, v52
	v_fma_f16 v52, v25, s15, v46
	v_add_f16_e32 v33, v33, v42
	v_fma_f16 v42, v25, s15, -v46
	v_mul_f16_e32 v46, 0x3b7b, v24
	v_add_f16_e32 v34, v34, v55
	v_fma_f16 v55, v16, s5, -v46
	v_fma_f16 v46, v16, s5, v46
	v_add_f16_e32 v42, v42, v56
	v_mul_f16_e32 v56, 0x3b7b, v17
	v_add_f16_e32 v46, v46, v57
	v_mul_f16_e32 v57, 0x3770, v24
	v_add_f16_e32 v52, v52, v58
	v_add_f16_e32 v55, v55, v59
	v_fma_f16 v58, v25, s5, v56
	v_fma_f16 v56, v25, s5, -v56
	v_fma_f16 v59, v16, s4, -v57
	v_fma_f16 v57, v16, s4, v57
	v_add_f16_e32 v56, v56, v60
	v_mul_f16_e32 v60, 0x3770, v17
	v_add_f16_e32 v57, v57, v61
	v_mul_f16_e32 v61, 0xba95, v24
	v_add_f16_e32 v58, v58, v62
	v_add_f16_e32 v59, v59, v63
	v_fma_f16 v62, v25, s4, v60
	v_fma_f16 v60, v25, s4, -v60
	v_fma_f16 v63, v16, s1, -v61
	v_fma_f16 v61, v16, s1, v61
	v_mul_f16_e32 v24, 0xb94e, v24
	v_add_f16_e32 v60, v60, v64
	v_mul_f16_e32 v64, 0xba95, v17
	v_add_f16_e32 v61, v61, v65
	v_fma_f16 v65, v16, s14, -v24
	v_mul_f16_e32 v17, 0xb94e, v17
	v_fma_f16 v16, v16, s14, v24
	v_add_f16_e32 v3, v16, v3
	v_fma_f16 v16, v25, s14, -v17
	v_add_f16_e32 v2, v16, v2
	v_add_f16_e32 v16, v18, v23
	v_sub_f16_e32 v18, v18, v23
	v_sub_f16_e32 v23, v35, v40
	v_mul_f16_e32 v24, 0xbb7b, v23
	v_add_f16_e32 v62, v62, v66
	v_add_f16_e32 v63, v63, v67
	v_fma_f16 v66, v25, s1, v64
	v_fma_f16 v64, v25, s1, -v64
	v_fma_f16 v67, v25, s14, v17
	v_fma_f16 v25, v16, s5, -v24
	v_add_f16_e32 v17, v35, v40
	v_add_f16_e32 v25, v25, v32
	v_mul_f16_e32 v32, 0xbb7b, v18
	v_fma_f16 v24, v16, s5, v24
	v_add_f16_e32 v24, v24, v29
	v_fma_f16 v29, v17, s5, -v32
	v_add_f16_e32 v29, v29, v31
	v_mul_f16_e32 v31, 0x394e, v23
	v_fma_f16 v35, v17, s5, v32
	v_fma_f16 v32, v16, s14, -v31
	v_add_f16_e32 v32, v32, v34
	v_mul_f16_e32 v34, 0x394e, v18
	v_fma_f16 v31, v16, s14, v31
	v_fma_f16 v40, v17, s14, v34
	v_add_f16_e32 v31, v31, v33
	v_fma_f16 v33, v17, s14, -v34
	v_mul_f16_e32 v34, 0x3770, v23
	v_add_f16_e32 v35, v35, v41
	v_fma_f16 v41, v16, s4, -v34
	v_fma_f16 v34, v16, s4, v34
	v_add_f16_e32 v33, v33, v42
	v_mul_f16_e32 v42, 0x3770, v18
	v_add_f16_e32 v34, v34, v46
	v_mul_f16_e32 v46, 0xbbf1, v23
	v_add_f16_e32 v40, v40, v52
	v_add_f16_e32 v41, v41, v55
	v_fma_f16 v52, v17, s4, v42
	v_fma_f16 v42, v17, s4, -v42
	v_fma_f16 v55, v16, s0, -v46
	v_fma_f16 v46, v16, s0, v46
	v_add_f16_e32 v42, v42, v56
	v_mul_f16_e32 v56, 0xbbf1, v18
	v_add_f16_e32 v46, v46, v57
	v_mul_f16_e32 v57, 0x33a8, v23
	v_add_f16_e32 v52, v52, v58
	v_add_f16_e32 v55, v55, v59
	v_fma_f16 v58, v17, s0, v56
	v_fma_f16 v56, v17, s0, -v56
	v_fma_f16 v59, v16, s15, -v57
	v_fma_f16 v57, v16, s15, v57
	v_mul_f16_e32 v23, 0x3a95, v23
	v_add_f16_e32 v56, v56, v60
	v_mul_f16_e32 v60, 0x33a8, v18
	v_add_f16_e32 v57, v57, v61
	v_fma_f16 v61, v16, s1, -v23
	v_mul_f16_e32 v18, 0x3a95, v18
	v_fma_f16 v16, v16, s1, v23
	v_add_f16_e32 v3, v16, v3
	v_fma_f16 v16, v17, s1, -v18
	v_add_f16_e32 v59, v59, v63
	v_fma_f16 v63, v17, s1, v18
	v_add_f16_e32 v2, v16, v2
	v_add_f16_e32 v16, v19, v22
	v_sub_f16_e32 v18, v19, v22
	v_sub_f16_e32 v19, v36, v39
	v_mul_f16_e32 v22, 0xb94e, v19
	v_fma_f16 v23, v16, s14, -v22
	v_add_f16_e32 v58, v58, v62
	v_fma_f16 v62, v17, s15, v60
	v_fma_f16 v60, v17, s15, -v60
	v_add_f16_e32 v17, v36, v39
	v_add_f16_e32 v23, v23, v25
	v_mul_f16_e32 v25, 0xb94e, v18
	v_fma_f16 v22, v16, s14, v22
	v_fma_f16 v36, v17, s14, v25
	v_add_f16_e32 v22, v22, v24
	v_fma_f16 v24, v17, s14, -v25
	v_mul_f16_e32 v25, 0x3bf1, v19
	v_add_f16_e32 v24, v24, v29
	v_fma_f16 v29, v16, s0, -v25
	v_add_f16_e32 v32, v29, v32
	v_mul_f16_e32 v29, 0x3bf1, v18
	v_add_f16_e32 v35, v36, v35
	v_fma_f16 v36, v17, s0, v29
	v_fma_f16 v25, v16, s0, v25
	v_fma_f16 v29, v17, s0, -v29
	v_add_f16_e32 v25, v25, v31
	v_add_f16_e32 v31, v29, v33
	v_mul_f16_e32 v29, 0xba95, v19
	v_fma_f16 v33, v16, s1, -v29
	v_mul_f16_e32 v39, 0xba95, v18
	v_fma_f16 v29, v16, s1, v29
	v_add_f16_e32 v34, v29, v34
	v_fma_f16 v29, v17, s1, -v39
	v_add_f16_e32 v36, v36, v40
	v_fma_f16 v40, v17, s1, v39
	v_add_f16_e32 v39, v29, v42
	v_mul_f16_e32 v29, 0x33a8, v19
	v_add_f16_e32 v33, v33, v41
	v_fma_f16 v41, v16, s15, -v29
	v_mul_f16_e32 v42, 0x33a8, v18
	v_fma_f16 v29, v16, s15, v29
	v_add_f16_e32 v46, v29, v46
	v_fma_f16 v29, v17, s15, -v42
	v_add_f16_e32 v40, v40, v52
	v_fma_f16 v52, v17, s15, v42
	v_add_f16_e32 v42, v29, v56
	v_mul_f16_e32 v29, 0x3770, v19
	v_add_f16_e32 v64, v64, v68
	v_add_f16_e32 v41, v41, v55
	v_fma_f16 v55, v16, s4, -v29
	v_mul_f16_e32 v56, 0x3770, v18
	v_fma_f16 v29, v16, s4, v29
	v_add_f16_e32 v69, v69, v73
	v_add_f16_e32 v60, v60, v64
	;; [unrolled: 1-line block ×3, first 2 shown]
	v_fma_f16 v29, v17, s4, -v56
	v_mul_f16_e32 v19, 0xbb7b, v19
	v_add_f16_e32 v65, v65, v69
	v_add_f16_e32 v60, v29, v60
	v_fma_f16 v29, v16, s5, -v19
	v_mul_f16_e32 v18, 0xbb7b, v18
	v_fma_f16 v16, v16, s5, v19
	v_add_f16_e32 v61, v61, v65
	v_add_f16_e32 v3, v16, v3
	v_fma_f16 v16, v17, s5, -v18
	v_sub_f16_e32 v19, v37, v38
	v_add_f16_e32 v71, v71, v74
	v_add_f16_e32 v61, v29, v61
	v_fma_f16 v29, v17, s5, v18
	v_add_f16_e32 v2, v16, v2
	v_add_f16_e32 v16, v20, v21
	v_sub_f16_e32 v18, v20, v21
	v_mul_f16_e32 v20, 0xb3a8, v19
	v_add_f16_e32 v67, v67, v71
	v_fma_f16 v21, v16, s15, -v20
	v_add_f16_e32 v63, v63, v67
	v_add_f16_e32 v52, v52, v58
	v_fma_f16 v58, v17, s4, v56
	v_add_f16_e32 v17, v37, v38
	v_add_f16_e32 v21, v21, v23
	v_mul_f16_e32 v23, 0xb3a8, v18
	v_add_f16_e32 v63, v29, v63
	v_fma_f16 v29, v17, s15, v23
	v_fma_f16 v20, v16, s15, v20
	v_add_f16_e32 v35, v29, v35
	v_add_f16_e32 v29, v20, v22
	v_fma_f16 v20, v17, s15, -v23
	v_add_f16_e32 v56, v20, v24
	v_mul_f16_e32 v20, 0x3770, v19
	v_fma_f16 v22, v16, s4, -v20
	v_mul_f16_e32 v23, 0x3770, v18
	v_fma_f16 v20, v16, s4, v20
	v_add_f16_e32 v22, v22, v32
	v_add_f16_e32 v32, v20, v25
	v_fma_f16 v20, v17, s4, -v23
	v_add_f16_e32 v70, v70, v72
	v_add_f16_e32 v57, v20, v31
	v_mul_f16_e32 v20, 0xb94e, v19
	v_mul_f16_e32 v25, 0xb94e, v18
	v_add_f16_e32 v66, v66, v70
	v_fma_f16 v24, v17, s4, v23
	v_fma_f16 v23, v16, s14, -v20
	v_fma_f16 v31, v17, s14, v25
	v_fma_f16 v20, v16, s14, v20
	v_add_f16_e32 v62, v62, v66
	v_add_f16_e32 v23, v23, v33
	;; [unrolled: 1-line block ×4, first 2 shown]
	v_fma_f16 v20, v17, s14, -v25
	v_add_f16_e32 v62, v58, v62
	v_add_f16_e32 v58, v20, v39
	v_mul_f16_e32 v20, 0x3a95, v19
	v_fma_f16 v25, v16, s1, -v20
	v_mul_f16_e32 v34, 0x3a95, v18
	v_fma_f16 v20, v16, s1, v20
	v_add_f16_e32 v40, v20, v46
	v_fma_f16 v20, v17, s1, -v34
	v_add_f16_e32 v55, v55, v59
	v_add_f16_e32 v59, v20, v42
	v_mul_f16_e32 v20, 0xbb7b, v19
	v_add_f16_e32 v24, v24, v36
	v_fma_f16 v36, v17, s1, v34
	v_fma_f16 v34, v16, s5, -v20
	v_mul_f16_e32 v37, 0xbb7b, v18
	v_fma_f16 v20, v16, s5, v20
	v_add_f16_e32 v39, v20, v64
	v_fma_f16 v20, v17, s5, -v37
	v_mul_f16_e32 v19, 0x3bf1, v19
	v_add_f16_e32 v36, v36, v52
	v_fma_f16 v38, v17, s5, v37
	v_add_f16_e32 v46, v20, v60
	v_fma_f16 v20, v16, s0, -v19
	v_mul_f16_e32 v18, 0x3bf1, v18
	v_fma_f16 v16, v16, s0, v19
	v_add_lshl_u32 v52, v0, v1, 2
	v_pack_b32_f16 v0, v53, v54
	v_pack_b32_f16 v1, v21, v35
	v_add_f16_e32 v25, v25, v41
	v_add_f16_e32 v34, v34, v55
	;; [unrolled: 1-line block ×3, first 2 shown]
	v_fma_f16 v37, v17, s0, v18
	v_add_f16_e32 v3, v16, v3
	v_fma_f16 v16, v17, s0, -v18
	ds_write2_b32 v52, v0, v1 offset1:17
	v_pack_b32_f16 v0, v22, v24
	v_pack_b32_f16 v1, v23, v33
	v_add_f16_e32 v20, v20, v61
	v_add_f16_e32 v37, v37, v63
	;; [unrolled: 1-line block ×3, first 2 shown]
	ds_write2_b32 v52, v0, v1 offset0:34 offset1:51
	v_pack_b32_f16 v0, v25, v36
	v_pack_b32_f16 v1, v34, v38
	ds_write2_b32 v52, v0, v1 offset0:68 offset1:85
	v_pack_b32_f16 v0, v20, v37
	v_pack_b32_f16 v1, v3, v2
	;; [unrolled: 3-line block ×4, first 2 shown]
	ds_write2_b32 v52, v0, v1 offset0:170 offset1:187
	v_pack_b32_f16 v0, v29, v56
	v_add_u32_e32 v53, 0x680, v48
	v_add_u32_e32 v54, 0xd80, v48
	;; [unrolled: 1-line block ×3, first 2 shown]
	ds_write_b32 v52, v0 offset:816
	s_waitcnt lgkmcnt(0)
	s_barrier
	ds_read2_b32 v[33:34], v48 offset1:221
	ds_read2_b32 v[35:36], v53 offset0:26 offset1:247
	ds_read2_b32 v[37:38], v54 offset0:20 offset1:241
	;; [unrolled: 1-line block ×3, first 2 shown]
	s_movk_i32 s0, 0x55
	v_cmp_gt_u16_e64 s[0:1], s0, v172
	s_and_saveexec_b64 s[4:5], s[0:1]
	s_cbranch_execz .LBB0_9
; %bb.8:
	v_add_u32_e32 v0, 0x200, v48
	ds_read2_b32 v[39:40], v0 offset0:8 offset1:229
	v_add_u32_e32 v0, 0x900, v48
	v_add_u32_e32 v1, 0xf80, v48
	ds_read2_b32 v[31:32], v0 offset0:2 offset1:223
	v_add_u32_e32 v0, 0x1680, v48
	ds_read2_b32 v[29:30], v1 offset0:28 offset1:249
	ds_read2_b32 v[27:28], v0 offset0:22 offset1:243
	s_waitcnt lgkmcnt(3)
	v_lshrrev_b32_e32 v46, 16, v39
	v_lshrrev_b32_e32 v59, 16, v40
	s_waitcnt lgkmcnt(2)
	v_lshrrev_b32_e32 v58, 16, v31
	v_lshrrev_b32_e32 v57, 16, v32
	;; [unrolled: 3-line block ×4, first 2 shown]
.LBB0_9:
	s_or_b64 exec, exec, s[4:5]
	v_mad_u64_u32 v[0:1], s[4:5], v172, 28, s[2:3]
	v_add_u32_e32 v2, 0x88, v172
	v_add_u32_e32 v3, 0xffffffab, v172
	v_cndmask_b32_e64 v2, v3, v2, s[0:1]
	global_load_dwordx4 v[16:19], v[0:1], off offset:816
	global_load_dwordx3 v[23:25], v[0:1], off offset:832
	v_mul_i32_i24_e32 v0, 28, v2
	v_mov_b32_e32 v20, s3
	v_mul_hi_i32_i24_e32 v3, 28, v2
	v_add_co_u32_e64 v60, s[2:3], s2, v0
	v_addc_co_u32_e64 v61, s[2:3], v20, v3, s[2:3]
	global_load_dwordx4 v[0:3], v[60:61], off offset:816
	global_load_dwordx3 v[20:22], v[60:61], off offset:832
	s_waitcnt lgkmcnt(1)
	v_lshrrev_b32_e32 v64, 16, v37
	v_lshrrev_b32_e32 v61, 16, v34
	v_lshrrev_b32_e32 v62, 16, v35
	v_lshrrev_b32_e32 v63, 16, v36
	v_lshrrev_b32_e32 v65, 16, v38
	s_waitcnt lgkmcnt(0)
	v_lshrrev_b32_e32 v66, 16, v41
	v_lshrrev_b32_e32 v67, 16, v42
	;; [unrolled: 1-line block ×3, first 2 shown]
	s_mov_b32 s2, 0xb9a8
	s_movk_i32 s3, 0x39a8
	s_waitcnt vmcnt(3)
	v_mul_f16_sdwa v69, v34, v16 dst_sel:DWORD dst_unused:UNUSED_PAD src0_sel:DWORD src1_sel:WORD_1
	v_mul_f16_sdwa v71, v35, v17 dst_sel:DWORD dst_unused:UNUSED_PAD src0_sel:DWORD src1_sel:WORD_1
	;; [unrolled: 1-line block ×5, first 2 shown]
	s_waitcnt vmcnt(2)
	v_mul_f16_sdwa v77, v38, v23 dst_sel:DWORD dst_unused:UNUSED_PAD src0_sel:DWORD src1_sel:WORD_1
	v_mul_f16_sdwa v79, v41, v24 dst_sel:DWORD dst_unused:UNUSED_PAD src0_sel:DWORD src1_sel:WORD_1
	;; [unrolled: 1-line block ×9, first 2 shown]
	s_waitcnt vmcnt(1)
	v_mul_f16_sdwa v83, v40, v0 dst_sel:DWORD dst_unused:UNUSED_PAD src0_sel:DWORD src1_sel:WORD_1
	v_mul_f16_sdwa v84, v58, v1 dst_sel:DWORD dst_unused:UNUSED_PAD src0_sel:DWORD src1_sel:WORD_1
	;; [unrolled: 1-line block ×4, first 2 shown]
	v_fma_f16 v61, v61, v16, v69
	v_fma_f16 v62, v62, v17, v71
	;; [unrolled: 1-line block ×3, first 2 shown]
	v_fma_f16 v37, v37, v19, -v74
	v_fma_f16 v64, v64, v19, v75
	v_fma_f16 v65, v65, v23, v77
	;; [unrolled: 1-line block ×4, first 2 shown]
	v_mul_f16_sdwa v82, v59, v0 dst_sel:DWORD dst_unused:UNUSED_PAD src0_sel:DWORD src1_sel:WORD_1
	v_mul_f16_sdwa v85, v31, v1 dst_sel:DWORD dst_unused:UNUSED_PAD src0_sel:DWORD src1_sel:WORD_1
	;; [unrolled: 1-line block ×4, first 2 shown]
	v_fma_f16 v34, v34, v16, -v68
	v_fma_f16 v35, v35, v17, -v70
	;; [unrolled: 1-line block ×6, first 2 shown]
	v_fma_f16 v68, v59, v0, v83
	v_fma_f16 v69, v31, v1, -v84
	v_fma_f16 v72, v57, v2, v87
	v_fma_f16 v73, v29, v3, -v88
	v_sub_f16_e32 v29, v33, v37
	v_sub_f16_e32 v31, v60, v64
	;; [unrolled: 1-line block ×5, first 2 shown]
	v_fma_f16 v70, v58, v1, v85
	v_fma_f16 v71, v32, v2, -v86
	v_fma_f16 v74, v56, v3, v89
	v_sub_f16_e32 v32, v35, v41
	v_fma_f16 v41, v60, 2.0, -v31
	v_fma_f16 v56, v62, 2.0, -v37
	v_sub_f16_e32 v38, v34, v38
	v_fma_f16 v58, v61, 2.0, -v57
	v_sub_f16_e32 v42, v36, v42
	v_fma_f16 v60, v63, 2.0, -v59
	v_fma_f16 v33, v33, 2.0, -v29
	;; [unrolled: 1-line block ×5, first 2 shown]
	v_sub_f16_e32 v62, v41, v56
	v_add_f16_e32 v64, v31, v32
	v_sub_f16_e32 v60, v58, v60
	v_sub_f16_e32 v35, v33, v35
	v_fma_f16 v41, v41, 2.0, -v62
	v_sub_f16_e32 v63, v29, v37
	v_fma_f16 v37, v31, 2.0, -v64
	;; [unrolled: 2-line block ×4, first 2 shown]
	v_fma_f16 v32, v29, 2.0, -v63
	v_fma_f16 v29, v34, 2.0, -v36
	v_add_f16_e32 v42, v57, v42
	v_fma_f16 v38, v38, 2.0, -v65
	v_sub_f16_e32 v56, v41, v31
	s_waitcnt vmcnt(0)
	v_mul_f16_sdwa v90, v45, v20 dst_sel:DWORD dst_unused:UNUSED_PAD src0_sel:DWORD src1_sel:WORD_1
	v_mul_f16_sdwa v92, v44, v21 dst_sel:DWORD dst_unused:UNUSED_PAD src0_sel:DWORD src1_sel:WORD_1
	;; [unrolled: 1-line block ×3, first 2 shown]
	v_fma_f16 v34, v57, 2.0, -v42
	v_sub_f16_e32 v33, v61, v29
	v_fma_f16 v29, v41, 2.0, -v56
	v_fma_f16 v41, v38, s2, v32
	v_mul_f16_sdwa v91, v30, v20 dst_sel:DWORD dst_unused:UNUSED_PAD src0_sel:DWORD src1_sel:WORD_1
	v_mul_f16_sdwa v93, v27, v21 dst_sel:DWORD dst_unused:UNUSED_PAD src0_sel:DWORD src1_sel:WORD_1
	v_mul_f16_sdwa v95, v28, v22 dst_sel:DWORD dst_unused:UNUSED_PAD src0_sel:DWORD src1_sel:WORD_1
	v_fma_f16 v40, v40, v0, -v82
	v_fma_f16 v30, v30, v20, -v90
	;; [unrolled: 1-line block ×4, first 2 shown]
	v_fma_f16 v31, v61, 2.0, -v33
	v_fma_f16 v57, v34, s2, v37
	v_fma_f16 v34, v34, s2, v41
	v_add_f16_e32 v61, v62, v36
	v_fma_f16 v36, v65, s3, v63
	v_fma_f16 v41, v42, s3, v64
	;; [unrolled: 1-line block ×6, first 2 shown]
	v_fma_f16 v59, v62, 2.0, -v61
	v_fma_f16 v38, v42, s2, v36
	v_fma_f16 v62, v65, s3, v41
	v_sub_f16_e32 v41, v39, v73
	v_sub_f16_e32 v27, v69, v27
	;; [unrolled: 1-line block ×4, first 2 shown]
	v_fma_f16 v36, v63, 2.0, -v38
	v_sub_f16_e32 v42, v46, v74
	v_fma_f16 v39, v39, 2.0, -v41
	v_sub_f16_e32 v44, v70, v44
	;; [unrolled: 2-line block ×4, first 2 shown]
	v_fma_f16 v66, v71, 2.0, -v28
	v_fma_f16 v57, v37, 2.0, -v58
	v_sub_f16_e32 v37, v35, v60
	v_fma_f16 v60, v64, 2.0, -v62
	v_fma_f16 v46, v46, 2.0, -v42
	;; [unrolled: 1-line block ×5, first 2 shown]
	v_sub_f16_e32 v69, v39, v63
	v_sub_f16_e32 v44, v41, v44
	v_add_f16_e32 v27, v42, v27
	v_sub_f16_e32 v71, v40, v66
	v_sub_f16_e32 v73, v30, v43
	v_add_f16_e32 v28, v45, v28
	v_sub_f16_e32 v70, v46, v64
	v_fma_f16 v39, v39, 2.0, -v69
	v_fma_f16 v64, v41, 2.0, -v44
	;; [unrolled: 1-line block ×3, first 2 shown]
	v_sub_f16_e32 v72, v65, v67
	v_fma_f16 v40, v40, 2.0, -v71
	v_fma_f16 v30, v30, 2.0, -v73
	;; [unrolled: 1-line block ×5, first 2 shown]
	v_sub_f16_e32 v41, v39, v40
	v_fma_f16 v40, v30, s2, v64
	v_fma_f16 v45, v43, s2, v68
	v_sub_f16_e32 v66, v46, v42
	v_fma_f16 v42, v43, s2, v40
	v_fma_f16 v67, v30, s3, v45
	v_sub_f16_e32 v45, v69, v72
	v_fma_f16 v40, v64, 2.0, -v42
	v_fma_f16 v64, v68, 2.0, -v67
	v_add_f16_e32 v68, v70, v71
	v_fma_f16 v43, v69, 2.0, -v45
	v_fma_f16 v69, v28, s3, v27
	v_fma_f16 v32, v32, 2.0, -v34
	v_fma_f16 v65, v70, 2.0, -v68
	v_fma_f16 v30, v73, s3, v44
	v_fma_f16 v70, v73, s3, v69
	v_fma_f16 v35, v35, 2.0, -v37
	v_fma_f16 v63, v46, 2.0, -v66
	v_fma_f16 v46, v28, s2, v30
	v_fma_f16 v69, v27, 2.0, -v70
	v_pack_b32_f16 v27, v31, v29
	v_pack_b32_f16 v28, v32, v57
	ds_write2_b32 v48, v27, v28 offset1:221
	v_pack_b32_f16 v27, v35, v59
	v_pack_b32_f16 v28, v36, v60
	ds_write2_b32 v53, v27, v28 offset0:26 offset1:247
	v_pack_b32_f16 v27, v33, v56
	v_pack_b32_f16 v28, v34, v58
	v_fma_f16 v39, v39, 2.0, -v41
	v_fma_f16 v44, v44, 2.0, -v46
	ds_write2_b32 v54, v27, v28 offset0:20 offset1:241
	v_pack_b32_f16 v27, v37, v61
	v_pack_b32_f16 v28, v38, v62
	ds_write2_b32 v55, v27, v28 offset0:14 offset1:235
	s_and_saveexec_b64 s[2:3], s[0:1]
	s_cbranch_execz .LBB0_11
; %bb.10:
	s_mov_b32 s4, 0x5040100
	v_perm_b32 v27, v63, v39, s4
	v_perm_b32 v28, v64, v40, s4
	v_add_u32_e32 v30, 0x200, v48
	ds_write2_b32 v30, v27, v28 offset0:8 offset1:229
	v_perm_b32 v27, v65, v43, s4
	v_perm_b32 v28, v69, v44, s4
	v_add_u32_e32 v30, 0x900, v48
	ds_write2_b32 v30, v27, v28 offset0:2 offset1:223
	;; [unrolled: 4-line block ×4, first 2 shown]
.LBB0_11:
	s_or_b64 exec, exec, s[2:3]
	s_waitcnt lgkmcnt(0)
	s_barrier
	s_and_saveexec_b64 s[4:5], vcc
	s_cbranch_execz .LBB0_13
; %bb.12:
	s_add_u32 s14, s6, 0x1ba0
	s_addc_u32 s15, s7, 0
	global_load_dword v30, v48, s[14:15]
	global_load_dword v55, v48, s[14:15] offset:416
	global_load_dword v77, v48, s[14:15] offset:832
	;; [unrolled: 1-line block ×8, first 2 shown]
	v_mov_b32_e32 v27, s15
	v_add_co_u32_e64 v28, s[2:3], s14, v48
	s_movk_i32 s16, 0x1000
	v_addc_co_u32_e64 v54, s[2:3], 0, v27, s[2:3]
	ds_read_b32 v53, v48
	global_load_dword v87, v48, s[14:15] offset:3744
	v_add_co_u32_e64 v27, s[2:3], s16, v28
	v_addc_co_u32_e64 v28, s[2:3], 0, v54, s[2:3]
	global_load_dword v88, v[27:28], off offset:64
	v_or_b32_e32 v54, 0x1a00, v48
	global_load_dword v90, v[27:28], off offset:480
	global_load_dword v91, v[27:28], off offset:896
	;; [unrolled: 1-line block ×5, first 2 shown]
	global_load_dword v95, v54, s[14:15]
	s_waitcnt lgkmcnt(0)
	v_lshrrev_b32_e32 v71, 16, v53
	v_add_u32_e32 v84, 0x400, v48
	v_add_u32_e32 v85, 0x800, v48
	;; [unrolled: 1-line block ×4, first 2 shown]
	s_waitcnt vmcnt(16)
	v_mul_f16_sdwa v27, v71, v30 dst_sel:DWORD dst_unused:UNUSED_PAD src0_sel:DWORD src1_sel:WORD_1
	v_mul_f16_sdwa v28, v53, v30 dst_sel:DWORD dst_unused:UNUSED_PAD src0_sel:DWORD src1_sel:WORD_1
	v_fma_f16 v27, v53, v30, -v27
	v_fma_f16 v28, v71, v30, v28
	v_pack_b32_f16 v27, v27, v28
	ds_write_b32 v48, v27
	ds_read2_b32 v[27:28], v48 offset0:104 offset1:208
	ds_read2_b32 v[53:54], v84 offset0:56 offset1:160
	;; [unrolled: 1-line block ×5, first 2 shown]
	s_waitcnt lgkmcnt(4)
	v_lshrrev_b32_e32 v30, 16, v27
	s_waitcnt vmcnt(15)
	v_mul_f16_sdwa v96, v27, v55 dst_sel:DWORD dst_unused:UNUSED_PAD src0_sel:DWORD src1_sel:WORD_1
	v_lshrrev_b32_e32 v97, 16, v28
	s_waitcnt vmcnt(14)
	v_mul_f16_sdwa v98, v28, v77 dst_sel:DWORD dst_unused:UNUSED_PAD src0_sel:DWORD src1_sel:WORD_1
	s_waitcnt lgkmcnt(3)
	v_lshrrev_b32_e32 v99, 16, v53
	s_waitcnt vmcnt(13)
	v_mul_f16_sdwa v100, v53, v78 dst_sel:DWORD dst_unused:UNUSED_PAD src0_sel:DWORD src1_sel:WORD_1
	v_lshrrev_b32_e32 v101, 16, v54
	s_waitcnt vmcnt(12)
	v_mul_f16_sdwa v102, v54, v79 dst_sel:DWORD dst_unused:UNUSED_PAD src0_sel:DWORD src1_sel:WORD_1
	s_waitcnt lgkmcnt(2)
	v_lshrrev_b32_e32 v103, 16, v71
	s_waitcnt vmcnt(11)
	v_mul_f16_sdwa v104, v71, v80 dst_sel:DWORD dst_unused:UNUSED_PAD src0_sel:DWORD src1_sel:WORD_1
	v_lshrrev_b32_e32 v105, 16, v72
	v_mul_f16_sdwa v111, v30, v55 dst_sel:DWORD dst_unused:UNUSED_PAD src0_sel:DWORD src1_sel:WORD_1
	v_fma_f16 v30, v30, v55, v96
	v_mul_f16_sdwa v96, v97, v77 dst_sel:DWORD dst_unused:UNUSED_PAD src0_sel:DWORD src1_sel:WORD_1
	s_waitcnt vmcnt(10)
	v_mul_f16_sdwa v106, v72, v81 dst_sel:DWORD dst_unused:UNUSED_PAD src0_sel:DWORD src1_sel:WORD_1
	s_waitcnt lgkmcnt(1)
	v_lshrrev_b32_e32 v107, 16, v73
	s_waitcnt vmcnt(9)
	v_mul_f16_sdwa v108, v73, v82 dst_sel:DWORD dst_unused:UNUSED_PAD src0_sel:DWORD src1_sel:WORD_1
	v_lshrrev_b32_e32 v109, 16, v74
	v_fma_f16 v97, v97, v77, v98
	v_mul_f16_sdwa v98, v99, v78 dst_sel:DWORD dst_unused:UNUSED_PAD src0_sel:DWORD src1_sel:WORD_1
	v_fma_f16 v99, v99, v78, v100
	v_mul_f16_sdwa v100, v101, v79 dst_sel:DWORD dst_unused:UNUSED_PAD src0_sel:DWORD src1_sel:WORD_1
	;; [unrolled: 2-line block ×4, first 2 shown]
	v_fma_f16 v27, v27, v55, -v111
	v_fma_f16 v28, v28, v77, -v96
	s_waitcnt vmcnt(8)
	v_mul_f16_sdwa v110, v74, v83 dst_sel:DWORD dst_unused:UNUSED_PAD src0_sel:DWORD src1_sel:WORD_1
	v_fma_f16 v105, v105, v81, v106
	v_mul_f16_sdwa v106, v107, v82 dst_sel:DWORD dst_unused:UNUSED_PAD src0_sel:DWORD src1_sel:WORD_1
	v_fma_f16 v107, v107, v82, v108
	v_mul_f16_sdwa v108, v109, v83 dst_sel:DWORD dst_unused:UNUSED_PAD src0_sel:DWORD src1_sel:WORD_1
	v_fma_f16 v53, v53, v78, -v98
	v_fma_f16 v54, v54, v79, -v100
	;; [unrolled: 1-line block ×4, first 2 shown]
	v_pack_b32_f16 v27, v27, v30
	v_pack_b32_f16 v28, v28, v97
	v_fma_f16 v72, v73, v82, -v106
	v_fma_f16 v73, v74, v83, -v108
	v_pack_b32_f16 v30, v53, v99
	v_pack_b32_f16 v53, v54, v101
	;; [unrolled: 1-line block ×4, first 2 shown]
	ds_write2_b32 v48, v27, v28 offset0:104 offset1:208
	ds_write2_b32 v84, v30, v53 offset0:56 offset1:160
	ds_write2_b32 v85, v54, v55 offset0:8 offset1:112
	v_fma_f16 v27, v109, v83, v110
	v_pack_b32_f16 v71, v72, v107
	v_pack_b32_f16 v27, v73, v27
	ds_write2_b32 v86, v71, v27 offset0:88 offset1:192
	s_waitcnt lgkmcnt(4)
	v_lshrrev_b32_e32 v27, 16, v75
	s_waitcnt vmcnt(7)
	v_mul_f16_sdwa v28, v27, v87 dst_sel:DWORD dst_unused:UNUSED_PAD src0_sel:DWORD src1_sel:WORD_1
	v_mul_f16_sdwa v30, v75, v87 dst_sel:DWORD dst_unused:UNUSED_PAD src0_sel:DWORD src1_sel:WORD_1
	v_fma_f16 v28, v75, v87, -v28
	v_fma_f16 v27, v27, v87, v30
	v_lshrrev_b32_e32 v53, 16, v76
	v_pack_b32_f16 v30, v28, v27
	s_waitcnt vmcnt(6)
	v_mul_f16_sdwa v27, v53, v88 dst_sel:DWORD dst_unused:UNUSED_PAD src0_sel:DWORD src1_sel:WORD_1
	v_add_u32_e32 v55, 0x1000, v48
	v_fma_f16 v54, v76, v88, -v27
	ds_read2_b32 v[27:28], v55 offset0:120 offset1:224
	v_mul_f16_sdwa v71, v76, v88 dst_sel:DWORD dst_unused:UNUSED_PAD src0_sel:DWORD src1_sel:WORD_1
	v_fma_f16 v53, v53, v88, v71
	v_pack_b32_f16 v53, v54, v53
	ds_write2_b32 v89, v30, v53 offset0:40 offset1:144
	s_waitcnt lgkmcnt(1)
	v_lshrrev_b32_e32 v30, 16, v27
	s_waitcnt vmcnt(5)
	v_mul_f16_sdwa v53, v30, v90 dst_sel:DWORD dst_unused:UNUSED_PAD src0_sel:DWORD src1_sel:WORD_1
	v_fma_f16 v53, v27, v90, -v53
	v_mul_f16_sdwa v27, v27, v90 dst_sel:DWORD dst_unused:UNUSED_PAD src0_sel:DWORD src1_sel:WORD_1
	v_fma_f16 v27, v30, v90, v27
	v_lshrrev_b32_e32 v30, 16, v28
	v_pack_b32_f16 v27, v53, v27
	s_waitcnt vmcnt(4)
	v_mul_f16_sdwa v53, v30, v91 dst_sel:DWORD dst_unused:UNUSED_PAD src0_sel:DWORD src1_sel:WORD_1
	v_add_u32_e32 v72, 0x1400, v48
	v_fma_f16 v71, v28, v91, -v53
	ds_read2_b32 v[53:54], v72 offset0:72 offset1:176
	v_mul_f16_sdwa v28, v28, v91 dst_sel:DWORD dst_unused:UNUSED_PAD src0_sel:DWORD src1_sel:WORD_1
	v_fma_f16 v28, v30, v91, v28
	v_pack_b32_f16 v28, v71, v28
	ds_write2_b32 v55, v27, v28 offset0:120 offset1:224
	s_waitcnt lgkmcnt(1)
	v_lshrrev_b32_e32 v27, 16, v53
	s_waitcnt vmcnt(3)
	v_mul_f16_sdwa v28, v27, v92 dst_sel:DWORD dst_unused:UNUSED_PAD src0_sel:DWORD src1_sel:WORD_1
	v_mul_f16_sdwa v30, v53, v92 dst_sel:DWORD dst_unused:UNUSED_PAD src0_sel:DWORD src1_sel:WORD_1
	v_fma_f16 v28, v53, v92, -v28
	v_fma_f16 v27, v27, v92, v30
	v_lshrrev_b32_e32 v53, 16, v54
	v_pack_b32_f16 v30, v28, v27
	s_waitcnt vmcnt(2)
	v_mul_f16_sdwa v27, v53, v93 dst_sel:DWORD dst_unused:UNUSED_PAD src0_sel:DWORD src1_sel:WORD_1
	v_add_u32_e32 v71, 0x1800, v48
	v_fma_f16 v55, v54, v93, -v27
	ds_read2_b32 v[27:28], v71 offset0:24 offset1:128
	v_mul_f16_sdwa v54, v54, v93 dst_sel:DWORD dst_unused:UNUSED_PAD src0_sel:DWORD src1_sel:WORD_1
	v_fma_f16 v53, v53, v93, v54
	v_pack_b32_f16 v53, v55, v53
	ds_write2_b32 v72, v30, v53 offset0:72 offset1:176
	s_waitcnt lgkmcnt(1)
	v_lshrrev_b32_e32 v30, 16, v27
	s_waitcnt vmcnt(1)
	v_mul_f16_sdwa v53, v30, v94 dst_sel:DWORD dst_unused:UNUSED_PAD src0_sel:DWORD src1_sel:WORD_1
	v_fma_f16 v53, v27, v94, -v53
	v_mul_f16_sdwa v27, v27, v94 dst_sel:DWORD dst_unused:UNUSED_PAD src0_sel:DWORD src1_sel:WORD_1
	v_fma_f16 v27, v30, v94, v27
	v_lshrrev_b32_e32 v30, 16, v28
	v_pack_b32_f16 v27, v53, v27
	s_waitcnt vmcnt(0)
	v_mul_f16_sdwa v53, v30, v95 dst_sel:DWORD dst_unused:UNUSED_PAD src0_sel:DWORD src1_sel:WORD_1
	v_fma_f16 v53, v28, v95, -v53
	v_mul_f16_sdwa v28, v28, v95 dst_sel:DWORD dst_unused:UNUSED_PAD src0_sel:DWORD src1_sel:WORD_1
	v_fma_f16 v28, v30, v95, v28
	v_pack_b32_f16 v28, v53, v28
	ds_write2_b32 v71, v27, v28 offset0:24 offset1:128
.LBB0_13:
	s_or_b64 exec, exec, s[4:5]
	s_waitcnt lgkmcnt(0)
	s_barrier
	s_and_saveexec_b64 s[2:3], vcc
	s_cbranch_execz .LBB0_15
; %bb.14:
	v_add_u32_e32 v27, 0x200, v48
	ds_read2_b32 v[35:36], v27 offset0:80 offset1:184
	v_add_u32_e32 v27, 0x600, v48
	ds_read2_b32 v[33:34], v27 offset0:32 offset1:136
	;; [unrolled: 2-line block ×6, first 2 shown]
	v_add_u32_e32 v27, 0x1600, v48
	ds_read2_b32 v[31:32], v48 offset1:104
	ds_read2_b32 v[45:46], v27 offset0:48 offset1:152
	ds_read_b32 v50, v48 offset:6656
	s_waitcnt lgkmcnt(8)
	v_lshrrev_b32_e32 v59, 16, v35
	v_lshrrev_b32_e32 v60, 16, v36
	s_waitcnt lgkmcnt(2)
	v_lshrrev_b32_e32 v29, 16, v31
	v_lshrrev_b32_e32 v57, 16, v32
	;; [unrolled: 1-line block ×12, first 2 shown]
	s_waitcnt lgkmcnt(1)
	v_lshrrev_b32_e32 v68, 16, v45
	v_lshrrev_b32_e32 v70, 16, v46
	s_waitcnt lgkmcnt(0)
	v_lshrrev_b32_e32 v176, 16, v50
.LBB0_15:
	s_or_b64 exec, exec, s[2:3]
	v_sub_f16_e32 v78, v57, v176
	v_add_f16_e32 v71, v50, v32
	v_add_f16_e32 v81, v176, v57
	s_movk_i32 s4, 0x39e9
	v_mul_f16_e32 v84, 0xb964, v78
	v_sub_f16_e32 v82, v59, v70
	v_sub_f16_e32 v72, v32, v50
	s_mov_b32 s15, 0xb964
	v_mul_f16_e32 v88, 0x39e9, v81
	v_fma_f16 v27, v71, s4, -v84
	s_movk_i32 s14, 0x2de8
	v_add_f16_e32 v73, v46, v35
	v_add_f16_e32 v86, v70, v59
	v_mul_f16_e32 v91, 0xbbf7, v82
	v_add_f16_e32 v27, v31, v27
	v_fma_f16 v28, v72, s15, v88
	s_movk_i32 s5, 0x3722
	v_mul_f16_e32 v94, 0xbb29, v78
	s_mov_b32 s18, 0xbbf7
	v_sub_f16_e32 v74, v35, v46
	v_mul_f16_e32 v96, 0x2de8, v86
	v_fma_f16 v75, v73, s14, -v91
	v_add_f16_e32 v28, v29, v28
	s_mov_b32 s16, 0xbb29
	v_mul_f16_e32 v101, 0x3722, v81
	v_fma_f16 v30, v71, s5, -v94
	v_add_f16_e32 v27, v75, v27
	v_fma_f16 v75, v74, s18, v96
	s_mov_b32 s17, 0xb8d2
	v_mul_f16_e32 v103, 0xba62, v82
	v_add_f16_e32 v30, v31, v30
	v_fma_f16 v53, v72, s16, v101
	v_mul_f16_e32 v108, 0xbbf7, v78
	v_add_f16_e32 v28, v75, v28
	s_mov_b32 s20, 0xba62
	v_mul_f16_e32 v109, 0xb8d2, v86
	v_fma_f16 v75, v73, s17, -v103
	v_add_f16_e32 v53, v29, v53
	v_mul_f16_e32 v115, 0x2de8, v81
	v_fma_f16 v54, v71, s14, -v108
	v_add_f16_e32 v30, v75, v30
	v_fma_f16 v75, v74, s20, v109
	s_mov_b32 s19, 0xbbdd
	v_mul_f16_e32 v116, 0xb1e1, v82
	v_add_f16_e32 v54, v31, v54
	v_fma_f16 v55, v72, s18, v115
	v_add_f16_e32 v53, v75, v53
	s_mov_b32 s21, 0xb1e1
	v_mul_f16_e32 v123, 0xbbdd, v86
	v_fma_f16 v75, v73, s19, -v116
	v_add_f16_e32 v55, v29, v55
	v_add_f16_e32 v54, v75, v54
	v_fma_f16 v75, v74, s21, v123
	v_sub_f16_e32 v87, v60, v68
	v_add_f16_e32 v55, v75, v55
	v_add_f16_e32 v75, v45, v36
	;; [unrolled: 1-line block ×3, first 2 shown]
	v_mul_f16_e32 v98, 0xba62, v87
	v_sub_f16_e32 v76, v36, v45
	v_mul_f16_e32 v104, 0xb8d2, v92
	v_fma_f16 v77, v75, s17, -v98
	v_add_f16_e32 v27, v77, v27
	v_fma_f16 v77, v76, s20, v104
	v_mul_f16_e32 v110, 0x31e1, v87
	v_add_f16_e32 v28, v77, v28
	s_movk_i32 s25, 0x31e1
	v_mul_f16_e32 v117, 0xbbdd, v92
	v_fma_f16 v77, v75, s19, -v110
	v_add_f16_e32 v30, v77, v30
	v_fma_f16 v77, v76, s25, v117
	s_mov_b32 s22, 0xb461
	v_mul_f16_e32 v125, 0x3bb2, v87
	v_add_f16_e32 v53, v77, v53
	s_movk_i32 s28, 0x3bb2
	v_mul_f16_e32 v131, 0xb461, v92
	v_fma_f16 v77, v75, s22, -v125
	v_add_f16_e32 v54, v77, v54
	v_fma_f16 v77, v76, s28, v131
	v_sub_f16_e32 v93, v56, v67
	v_add_f16_e32 v55, v77, v55
	v_add_f16_e32 v77, v42, v33
	;; [unrolled: 1-line block ×3, first 2 shown]
	v_mul_f16_e32 v107, 0xb1e1, v93
	v_sub_f16_e32 v79, v33, v42
	v_mul_f16_e32 v111, 0xbbdd, v100
	v_fma_f16 v80, v77, s19, -v107
	v_add_f16_e32 v27, v80, v27
	v_fma_f16 v80, v79, s21, v111
	v_mul_f16_e32 v118, 0x3bb2, v93
	v_add_f16_e32 v28, v80, v28
	v_mul_f16_e32 v124, 0xb461, v100
	v_fma_f16 v80, v77, s22, -v118
	v_add_f16_e32 v30, v80, v30
	v_fma_f16 v80, v79, s28, v124
	s_movk_i32 s23, 0x3b76
	v_mul_f16_e32 v132, 0x35c8, v93
	v_add_f16_e32 v53, v80, v53
	s_movk_i32 s30, 0x35c8
	v_mul_f16_e32 v137, 0x3b76, v100
	v_fma_f16 v80, v77, s23, -v132
	v_add_f16_e32 v54, v80, v54
	v_fma_f16 v80, v79, s30, v137
	v_sub_f16_e32 v99, v58, v66
	v_add_f16_e32 v55, v80, v55
	v_add_f16_e32 v80, v41, v34
	;; [unrolled: 1-line block ×3, first 2 shown]
	s_mov_b32 s24, 0xbacd
	v_mul_f16_e32 v114, 0x3836, v99
	v_sub_f16_e32 v83, v34, v41
	s_movk_i32 s29, 0x3836
	v_mul_f16_e32 v119, 0xbacd, v105
	v_fma_f16 v85, v80, s24, -v114
	v_add_f16_e32 v27, v85, v27
	v_fma_f16 v85, v83, s29, v119
	v_mul_f16_e32 v128, 0x3964, v99
	v_add_f16_e32 v28, v85, v28
	s_movk_i32 s31, 0x3964
	v_mul_f16_e32 v133, 0x39e9, v105
	v_fma_f16 v85, v80, s4, -v128
	v_add_f16_e32 v30, v85, v30
	v_fma_f16 v85, v83, s31, v133
	v_mul_f16_e32 v138, 0xbb29, v99
	v_add_f16_e32 v53, v85, v53
	v_mul_f16_e32 v142, 0x3722, v105
	v_fma_f16 v85, v80, s5, -v138
	v_add_f16_e32 v54, v85, v54
	v_fma_f16 v85, v83, s16, v142
	v_sub_f16_e32 v106, v61, v69
	v_add_f16_e32 v55, v85, v55
	v_add_f16_e32 v85, v44, v37
	;; [unrolled: 1-line block ×3, first 2 shown]
	v_mul_f16_e32 v122, 0x3bb2, v106
	v_sub_f16_e32 v89, v37, v44
	v_mul_f16_e32 v127, 0xb461, v113
	v_fma_f16 v90, v85, s22, -v122
	v_add_f16_e32 v27, v90, v27
	v_fma_f16 v90, v89, s28, v127
	v_mul_f16_e32 v134, 0xb5c8, v106
	v_add_f16_e32 v28, v90, v28
	s_mov_b32 s27, 0xb5c8
	v_mul_f16_e32 v139, 0x3b76, v113
	v_fma_f16 v90, v85, s23, -v134
	v_add_f16_e32 v30, v90, v30
	v_fma_f16 v90, v89, s27, v139
	v_mul_f16_e32 v143, 0xb836, v106
	v_add_f16_e32 v53, v90, v53
	s_mov_b32 s26, 0xb836
	v_mul_f16_e32 v146, 0xbacd, v113
	v_fma_f16 v90, v85, s24, -v143
	v_add_f16_e32 v54, v90, v54
	v_fma_f16 v90, v89, s26, v146
	v_sub_f16_e32 v112, v62, v65
	v_add_f16_e32 v55, v90, v55
	v_add_f16_e32 v90, v43, v38
	;; [unrolled: 1-line block ×3, first 2 shown]
	v_mul_f16_e32 v130, 0x3b29, v112
	v_sub_f16_e32 v95, v38, v43
	s_movk_i32 s33, 0x3b29
	v_mul_f16_e32 v135, 0x3722, v121
	v_fma_f16 v97, v90, s5, -v130
	v_add_f16_e32 v27, v97, v27
	v_fma_f16 v97, v95, s33, v135
	v_mul_f16_e32 v140, 0xbbf7, v112
	v_add_f16_e32 v126, v97, v28
	v_mul_f16_e32 v144, 0x2de8, v121
	v_fma_f16 v28, v90, s14, -v140
	v_add_f16_e32 v30, v28, v30
	v_fma_f16 v28, v95, s18, v144
	v_mul_f16_e32 v148, 0x3a62, v112
	v_add_f16_e32 v53, v28, v53
	s_movk_i32 s34, 0x3a62
	v_mul_f16_e32 v149, 0xb8d2, v121
	v_fma_f16 v28, v90, s17, -v148
	v_sub_f16_e32 v120, v63, v64
	v_add_f16_e32 v152, v28, v54
	v_fma_f16 v28, v95, s34, v149
	v_add_f16_e32 v97, v40, v39
	v_add_f16_e32 v129, v64, v63
	v_mul_f16_e32 v136, 0x35c8, v120
	v_add_f16_e32 v55, v28, v55
	v_sub_f16_e32 v102, v39, v40
	v_mul_f16_e32 v141, 0x3b76, v129
	v_fma_f16 v28, v97, s23, -v136
	v_add_f16_e32 v28, v28, v27
	v_fma_f16 v27, v102, s30, v141
	v_mul_f16_e32 v145, 0xb836, v120
	v_add_f16_e32 v54, v27, v126
	v_mul_f16_e32 v147, 0xbacd, v129
	v_fma_f16 v27, v97, s24, -v145
	v_add_f16_e32 v27, v27, v30
	v_fma_f16 v30, v102, s26, v147
	v_mul_f16_e32 v150, 0x3964, v120
	v_mul_f16_e32 v151, 0x39e9, v129
	v_add_f16_e32 v53, v30, v53
	v_fma_f16 v30, v97, s4, -v150
	v_fma_f16 v126, v102, s31, v151
	v_add_f16_e32 v30, v30, v152
	v_add_f16_e32 v55, v126, v55
	s_barrier
	s_and_saveexec_b64 s[2:3], vcc
	s_cbranch_execz .LBB0_17
; %bb.16:
	v_mul_f16_e32 v200, 0xbbb2, v72
	v_fma_f16 v126, v81, s22, v200
	v_mul_f16_e32 v201, 0x3836, v74
	v_add_f16_e32 v126, v29, v126
	v_fma_f16 v202, v86, s24, v201
	v_add_f16_e32 v126, v202, v126
	v_mul_f16_e32 v202, 0x3964, v76
	v_fma_f16 v203, v92, s4, v202
	v_add_f16_e32 v126, v203, v126
	v_mul_f16_e32 v203, 0xbb29, v79
	;; [unrolled: 3-line block ×7, first 2 shown]
	v_fma_f16 v209, v71, s22, -v208
	v_mul_f16_e32 v210, 0x3836, v82
	v_add_f16_e32 v209, v31, v209
	v_fma_f16 v211, v73, s24, -v210
	v_add_f16_e32 v209, v211, v209
	v_mul_f16_e32 v211, 0x3964, v87
	v_fma_f16 v212, v75, s4, -v211
	v_add_f16_e32 v209, v212, v209
	v_mul_f16_e32 v212, 0xbb29, v93
	;; [unrolled: 3-line block ×6, first 2 shown]
	v_fma_f16 v217, v97, s17, -v216
	buffer_store_dword v47, off, s[48:51], 0 ; 4-byte Folded Spill
	v_add_f16_e32 v47, v217, v209
	v_mul_f16_e32 v217, 0xba62, v72
	v_fma_f16 v218, v81, s17, v217
	v_mul_f16_e32 v219, 0x3bb2, v74
	v_add_f16_e32 v218, v29, v218
	v_fma_f16 v220, v86, s22, v219
	v_add_f16_e32 v218, v220, v218
	v_mul_f16_e32 v220, 0xb5c8, v76
	v_fma_f16 v221, v92, s23, v220
	v_add_f16_e32 v218, v221, v218
	v_mul_f16_e32 v221, 0xb836, v79
	;; [unrolled: 3-line block ×6, first 2 shown]
	v_fma_f16 v226, v129, s5, v225
	buffer_store_dword v47, off, s[48:51], 0 offset:4 ; 4-byte Folded Spill
	v_add_f16_e32 v47, v226, v218
	v_mul_f16_e32 v226, 0xba62, v78
	v_fma_f16 v227, v71, s17, -v226
	v_mul_f16_e32 v228, 0x3bb2, v82
	v_add_f16_e32 v227, v31, v227
	v_fma_f16 v229, v73, s22, -v228
	v_add_f16_e32 v227, v229, v227
	v_mul_f16_e32 v229, 0xb5c8, v87
	v_fma_f16 v230, v75, s23, -v229
	v_add_f16_e32 v227, v230, v227
	v_mul_f16_e32 v230, 0xb836, v93
	;; [unrolled: 3-line block ×6, first 2 shown]
	v_fma_f16 v235, v97, s5, -v234
	buffer_store_dword v47, off, s[48:51], 0 offset:8 ; 4-byte Folded Spill
	v_add_f16_e32 v47, v235, v227
	v_mul_f16_e32 v235, 0xb836, v72
	v_fma_f16 v236, v81, s24, v235
	v_mul_f16_e32 v237, 0x3b29, v74
	v_add_f16_e32 v236, v29, v236
	v_fma_f16 v238, v86, s5, v237
	v_add_f16_e32 v236, v238, v236
	v_mul_f16_e32 v238, 0xbbf7, v76
	v_fma_f16 v239, v92, s14, v238
	v_add_f16_e32 v236, v239, v236
	v_mul_f16_e32 v239, 0x3a62, v79
	;; [unrolled: 3-line block ×7, first 2 shown]
	v_fma_f16 v245, v71, s24, -v244
	v_mul_f16_e32 v246, 0x3b29, v82
	v_add_f16_e32 v245, v31, v245
	v_fma_f16 v247, v73, s5, -v246
	v_add_f16_e32 v245, v247, v245
	v_mul_f16_e32 v247, 0xbbf7, v87
	v_fma_f16 v248, v75, s14, -v247
	v_add_f16_e32 v245, v248, v245
	v_mul_f16_e32 v248, 0x3a62, v93
	;; [unrolled: 3-line block ×7, first 2 shown]
	v_fma_f16 v254, v81, s19, v253
	v_mul_f16_e32 v255, 0x35c8, v74
	v_add_f16_e32 v254, v29, v254
	v_fma_f16 v49, v86, s23, v255
	v_add_f16_e32 v49, v49, v254
	v_mul_f16_e32 v254, 0xb836, v76
	buffer_store_dword v47, off, s[48:51], 0 offset:12 ; 4-byte Folded Spill
	v_fma_f16 v47, v92, s24, v254
	v_add_f16_e32 v47, v47, v49
	v_mul_f16_e32 v49, 0x3964, v79
	v_fma_f16 v126, v100, s4, v49
	v_add_f16_e32 v47, v126, v47
	v_mul_f16_e32 v126, 0xba62, v83
	;; [unrolled: 3-line block ×4, first 2 shown]
	v_mov_b32_e32 v154, v26
	v_fma_f16 v26, v121, s22, v218
	v_add_f16_e32 v26, v26, v47
	v_mul_f16_e32 v47, 0x3bf7, v102
	v_fma_f16 v152, v129, s14, v47
	v_add_f16_e32 v26, v152, v26
	v_mul_f16_e32 v152, 0xb1e1, v78
	v_fma_f16 v227, v71, s19, -v152
	v_mul_f16_e32 v51, 0x35c8, v82
	v_add_f16_e32 v227, v31, v227
	v_fma_f16 v164, v73, s23, -v51
	v_add_f16_e32 v164, v164, v227
	v_mul_f16_e32 v227, 0xb836, v87
	v_fma_f16 v170, v75, s24, -v227
	v_add_f16_e32 v164, v170, v164
	v_mul_f16_e32 v170, 0x3964, v93
	;; [unrolled: 3-line block ×6, first 2 shown]
	v_fma_f16 v188, v97, s14, -v159
	v_add_f16_e32 v153, v188, v153
	v_fma_f16 v188, v81, s19, -v253
	v_add_f16_e32 v188, v29, v188
	;; [unrolled: 2-line block ×9, first 2 shown]
	v_fma_f16 v49, v71, s19, v152
	v_add_f16_e32 v49, v31, v49
	v_fma_f16 v51, v73, s23, v51
	v_add_f16_e32 v49, v51, v49
	;; [unrolled: 2-line block ×5, first 2 shown]
	v_fma_f16 v51, v85, s5, v158
	v_mul_f16_e32 v177, 0x3722, v71
	v_add_f16_e32 v49, v51, v49
	v_fma_f16 v51, v90, s22, v182
	v_mul_f16_e32 v171, 0xb8d2, v73
	v_add_f16_e32 v49, v51, v49
	v_fma_f16 v51, v97, s14, v159
	v_add_f16_e32 v94, v177, v94
	v_mul_f16_e32 v166, 0xbbdd, v75
	v_add_f16_e32 v49, v51, v49
	v_fma_f16 v51, v81, s24, -v235
	v_add_f16_e32 v94, v31, v94
	v_add_f16_e32 v103, v171, v103
	v_mul_f16_e32 v165, 0xb461, v77
	v_add_f16_e32 v51, v29, v51
	v_fma_f16 v126, v86, s5, -v237
	v_add_f16_e32 v94, v103, v94
	;; [unrolled: 5-line block ×6, first 2 shown]
	v_add_f16_e32 v103, v190, v140
	v_add_f16_e32 v51, v126, v51
	v_fma_f16 v126, v121, s4, -v242
	v_add_f16_e32 v94, v103, v94
	v_add_f16_e32 v103, v196, v145
	;; [unrolled: 1-line block ×3, first 2 shown]
	v_fma_f16 v126, v129, s22, -v243
	v_add_f16_e32 v94, v103, v94
	v_mul_f16_e32 v103, 0xb964, v72
	v_add_f16_e32 v51, v126, v51
	v_fma_f16 v126, v71, s24, v244
	v_sub_f16_e32 v88, v88, v103
	v_mul_f16_e32 v103, 0xbbf7, v74
	v_add_f16_e32 v126, v31, v126
	v_fma_f16 v152, v73, s5, v246
	v_add_f16_e32 v88, v29, v88
	v_sub_f16_e32 v96, v96, v103
	v_add_f16_e32 v126, v152, v126
	v_fma_f16 v152, v75, s14, v247
	v_add_f16_e32 v88, v96, v88
	v_mul_f16_e32 v96, 0xba62, v76
	v_add_f16_e32 v126, v152, v126
	v_fma_f16 v152, v77, s17, v248
	v_sub_f16_e32 v96, v104, v96
	v_add_f16_e32 v126, v152, v126
	v_fma_f16 v152, v80, s23, v249
	v_add_f16_e32 v88, v96, v88
	v_mul_f16_e32 v96, 0xb1e1, v79
	v_mul_f16_e32 v194, 0x3836, v83
	v_add_f16_e32 v126, v152, v126
	v_fma_f16 v152, v85, s19, v250
	v_sub_f16_e32 v96, v111, v96
	v_mul_f16_e32 v183, 0x3bb2, v89
	v_add_f16_e32 v126, v152, v126
	v_fma_f16 v152, v90, s4, v251
	v_add_f16_e32 v88, v96, v88
	v_sub_f16_e32 v96, v119, v194
	v_mul_f16_e32 v189, 0x3b29, v95
	v_add_f16_e32 v126, v152, v126
	v_fma_f16 v152, v97, s22, v252
	v_add_f16_e32 v88, v96, v88
	v_sub_f16_e32 v96, v127, v183
	v_mul_f16_e32 v195, 0x35c8, v102
	v_add_f16_e32 v126, v152, v126
	v_fma_f16 v152, v81, s17, -v217
	v_add_f16_e32 v88, v96, v88
	v_sub_f16_e32 v96, v135, v189
	v_add_f16_e32 v152, v29, v152
	v_fma_f16 v158, v86, s22, -v219
	v_add_f16_e32 v88, v96, v88
	v_sub_f16_e32 v96, v141, v195
	v_add_f16_e32 v152, v158, v152
	v_fma_f16 v158, v92, s23, -v220
	v_add_f16_e32 v88, v96, v88
	v_mul_f16_e32 v96, 0x39e9, v71
	v_add_f16_e32 v152, v158, v152
	v_fma_f16 v158, v100, s24, -v221
	v_add_f16_e32 v84, v96, v84
	v_mul_f16_e32 v96, 0x2de8, v73
	v_add_f16_e32 v152, v158, v152
	v_fma_f16 v158, v105, s14, -v222
	v_add_f16_e32 v84, v31, v84
	v_add_f16_e32 v91, v96, v91
	;; [unrolled: 1-line block ×3, first 2 shown]
	v_fma_f16 v158, v113, s4, -v223
	v_add_f16_e32 v84, v91, v84
	v_mul_f16_e32 v91, 0xb8d2, v75
	v_add_f16_e32 v152, v158, v152
	v_fma_f16 v158, v121, s19, -v224
	v_add_f16_e32 v91, v91, v98
	v_add_f16_e32 v152, v158, v152
	v_fma_f16 v158, v129, s5, -v225
	v_add_f16_e32 v84, v91, v84
	v_mul_f16_e32 v91, 0xbbdd, v77
	v_add_f16_e32 v152, v158, v152
	v_fma_f16 v158, v71, s17, v226
	v_add_f16_e32 v91, v91, v107
	v_add_f16_e32 v158, v31, v158
	v_fma_f16 v159, v73, s22, v228
	v_add_f16_e32 v84, v91, v84
	v_mul_f16_e32 v91, 0xbacd, v80
	v_add_f16_e32 v158, v159, v158
	v_fma_f16 v159, v75, s23, v229
	v_add_f16_e32 v91, v91, v114
	v_add_f16_e32 v158, v159, v158
	v_fma_f16 v159, v77, s24, v230
	;; [unrolled: 7-line block ×4, first 2 shown]
	v_add_f16_e32 v84, v91, v84
	v_mul_f16_e32 v91, 0x3b76, v97
	v_add_f16_e32 v158, v159, v158
	v_fma_f16 v159, v81, s22, -v200
	v_add_f16_e32 v91, v91, v136
	v_mul_f16_e32 v81, 0x3b76, v81
	v_add_f16_e32 v159, v29, v159
	v_fma_f16 v164, v86, s24, -v201
	v_add_f16_e32 v84, v91, v84
	v_fma_f16 v91, v72, s30, v81
	v_mul_f16_e32 v86, 0x39e9, v86
	v_add_f16_e32 v159, v164, v159
	v_fma_f16 v164, v92, s4, -v202
	v_add_f16_e32 v91, v29, v91
	v_fma_f16 v96, v74, s31, v86
	v_mul_f16_e32 v92, 0x3722, v92
	v_add_f16_e32 v91, v96, v91
	v_fma_f16 v96, v76, s33, v92
	s_movk_i32 s36, 0x3bf7
	v_add_f16_e32 v91, v96, v91
	v_mul_f16_e32 v96, 0x2de8, v100
	v_fma_f16 v98, v79, s36, v96
	v_add_f16_e32 v32, v32, v31
	v_add_f16_e32 v91, v98, v91
	v_mul_f16_e32 v98, 0xb461, v105
	v_add_f16_e32 v32, v35, v32
	v_add_f16_e32 v159, v164, v159
	v_fma_f16 v164, v100, s5, -v203
	v_fma_f16 v100, v83, s28, v98
	v_add_f16_e32 v32, v36, v32
	v_mul_f16_e32 v160, 0xbb29, v72
	v_mul_f16_e32 v157, 0xbbf7, v72
	v_add_f16_e32 v91, v100, v91
	v_mul_f16_e32 v100, 0xb8d2, v113
	v_add_f16_e32 v32, v33, v32
	v_sub_f16_e32 v115, v115, v157
	v_sub_f16_e32 v101, v101, v160
	v_fma_f16 v103, v89, s34, v100
	v_add_f16_e32 v32, v34, v32
	v_add_f16_e32 v33, v57, v29
	v_fma_f16 v34, v72, s27, v81
	v_add_f16_e32 v115, v29, v115
	v_add_f16_e32 v101, v29, v101
	;; [unrolled: 1-line block ×3, first 2 shown]
	v_mul_f16_e32 v103, 0xbacd, v121
	v_add_f16_e32 v33, v59, v33
	v_add_f16_e32 v29, v29, v34
	v_fma_f16 v34, v74, s15, v86
	v_fma_f16 v104, v95, s29, v103
	v_add_f16_e32 v33, v60, v33
	v_add_f16_e32 v29, v34, v29
	v_fma_f16 v34, v76, s16, v92
	s_mov_b32 s35, 0xbbb2
	v_add_f16_e32 v91, v104, v91
	v_mul_f16_e32 v104, 0xbbdd, v129
	v_add_f16_e32 v33, v56, v33
	v_add_f16_e32 v29, v34, v29
	v_fma_f16 v34, v79, s18, v96
	v_mul_f16_e32 v161, 0xba62, v74
	v_add_f16_e32 v159, v164, v159
	v_fma_f16 v164, v105, s19, -v204
	v_fma_f16 v105, v102, s25, v104
	v_mul_f16_e32 v78, 0xb5c8, v78
	v_add_f16_e32 v33, v58, v33
	v_add_f16_e32 v29, v34, v29
	v_fma_f16 v34, v83, s35, v98
	v_mul_f16_e32 v167, 0x31e1, v76
	v_add_f16_e32 v159, v164, v159
	v_fma_f16 v164, v113, s14, -v205
	v_sub_f16_e32 v109, v109, v161
	v_add_f16_e32 v91, v105, v91
	v_fma_f16 v105, v71, s23, v78
	v_mul_f16_e32 v82, 0xb964, v82
	v_add_f16_e32 v32, v37, v32
	v_add_f16_e32 v33, v61, v33
	v_add_f16_e32 v29, v34, v29
	v_fma_f16 v34, v89, s20, v100
	v_mul_f16_e32 v174, 0x3bb2, v79
	v_add_f16_e32 v159, v164, v159
	v_fma_f16 v164, v121, s23, -v206
	v_add_f16_e32 v101, v109, v101
	v_sub_f16_e32 v109, v117, v167
	v_add_f16_e32 v105, v31, v105
	v_fma_f16 v107, v73, s4, v82
	v_mul_f16_e32 v87, 0xbb29, v87
	v_add_f16_e32 v32, v38, v32
	v_add_f16_e32 v33, v62, v33
	;; [unrolled: 1-line block ×3, first 2 shown]
	v_fma_f16 v34, v95, s26, v103
	v_mul_f16_e32 v156, 0x2de8, v71
	v_mul_f16_e32 v179, 0x3964, v83
	v_add_f16_e32 v159, v164, v159
	v_fma_f16 v164, v129, s17, -v207
	v_add_f16_e32 v101, v109, v101
	v_sub_f16_e32 v109, v124, v174
	v_add_f16_e32 v105, v107, v105
	v_fma_f16 v107, v75, s5, v87
	v_mul_f16_e32 v93, 0xbbf7, v93
	v_add_f16_e32 v32, v39, v32
	v_add_f16_e32 v33, v63, v33
	;; [unrolled: 1-line block ×3, first 2 shown]
	v_fma_f16 v34, v102, s21, v104
	v_mul_f16_e32 v185, 0xb5c8, v89
	v_add_f16_e32 v159, v164, v159
	v_fma_f16 v164, v71, s22, v208
	v_add_f16_e32 v108, v156, v108
	v_add_f16_e32 v101, v109, v101
	v_sub_f16_e32 v109, v133, v179
	v_add_f16_e32 v105, v107, v105
	v_fma_f16 v107, v77, s14, v93
	v_mul_f16_e32 v99, 0xbbb2, v99
	v_add_f16_e32 v32, v40, v32
	v_add_f16_e32 v33, v64, v33
	;; [unrolled: 1-line block ×3, first 2 shown]
	v_fma_f16 v34, v71, s23, -v78
	v_mul_f16_e32 v162, 0xbbdd, v73
	v_mul_f16_e32 v163, 0xb1e1, v74
	;; [unrolled: 1-line block ×3, first 2 shown]
	v_add_f16_e32 v164, v31, v164
	v_add_f16_e32 v108, v31, v108
	;; [unrolled: 1-line block ×3, first 2 shown]
	v_sub_f16_e32 v109, v139, v185
	v_add_f16_e32 v105, v107, v105
	v_fma_f16 v107, v80, s22, v99
	v_mul_f16_e32 v106, 0xba62, v106
	v_add_f16_e32 v32, v43, v32
	v_add_f16_e32 v33, v65, v33
	;; [unrolled: 1-line block ×3, first 2 shown]
	v_fma_f16 v34, v73, s4, -v82
	v_mul_f16_e32 v168, 0xb461, v75
	v_mul_f16_e32 v169, 0x3bb2, v76
	v_mul_f16_e32 v197, 0xb836, v102
	v_fma_f16 v170, v73, s24, v210
	v_sub_f16_e32 v123, v123, v163
	v_add_f16_e32 v116, v162, v116
	v_add_f16_e32 v101, v109, v101
	v_sub_f16_e32 v109, v144, v191
	v_add_f16_e32 v105, v107, v105
	v_fma_f16 v107, v85, s17, v106
	v_add_f16_e32 v32, v44, v32
	v_add_f16_e32 v33, v69, v33
	;; [unrolled: 1-line block ×3, first 2 shown]
	v_fma_f16 v34, v75, s5, -v87
	v_mul_f16_e32 v155, 0x3b76, v77
	v_mul_f16_e32 v175, 0x35c8, v79
	v_add_f16_e32 v164, v170, v164
	v_fma_f16 v170, v75, s4, v211
	v_add_f16_e32 v115, v123, v115
	v_sub_f16_e32 v123, v131, v169
	v_add_f16_e32 v108, v116, v108
	v_add_f16_e32 v116, v168, v125
	;; [unrolled: 1-line block ×3, first 2 shown]
	v_sub_f16_e32 v109, v147, v197
	v_add_f16_e32 v105, v107, v105
	v_mul_f16_e32 v107, 0xb836, v112
	v_add_f16_e32 v32, v41, v32
	v_add_f16_e32 v33, v66, v33
	;; [unrolled: 1-line block ×3, first 2 shown]
	v_fma_f16 v34, v77, s14, -v93
	v_mul_f16_e32 v180, 0x3722, v80
	v_mul_f16_e32 v181, 0xbb29, v83
	v_add_f16_e32 v164, v170, v164
	v_fma_f16 v170, v77, s5, v212
	v_add_f16_e32 v115, v123, v115
	v_sub_f16_e32 v123, v137, v175
	v_add_f16_e32 v108, v116, v108
	v_add_f16_e32 v116, v155, v132
	;; [unrolled: 1-line block ×3, first 2 shown]
	v_fma_f16 v109, v90, s24, v107
	v_add_f16_e32 v32, v42, v32
	v_add_f16_e32 v33, v67, v33
	;; [unrolled: 1-line block ×3, first 2 shown]
	v_fma_f16 v34, v80, s22, -v99
	v_mul_f16_e32 v186, 0xbacd, v85
	v_mul_f16_e32 v187, 0xb836, v89
	v_add_f16_e32 v164, v170, v164
	v_fma_f16 v170, v80, s19, v213
	v_add_f16_e32 v115, v123, v115
	v_sub_f16_e32 v123, v142, v181
	v_add_f16_e32 v108, v116, v108
	v_add_f16_e32 v116, v180, v138
	;; [unrolled: 1-line block ×3, first 2 shown]
	v_mul_f16_e32 v109, 0xb1e1, v120
	v_add_f16_e32 v32, v45, v32
	v_add_f16_e32 v33, v68, v33
	;; [unrolled: 1-line block ×3, first 2 shown]
	v_fma_f16 v34, v85, s17, -v106
	v_mul_f16_e32 v192, 0xb8d2, v90
	v_mul_f16_e32 v193, 0x3a62, v95
	v_add_f16_e32 v164, v170, v164
	v_fma_f16 v170, v85, s14, v214
	v_add_f16_e32 v115, v123, v115
	v_sub_f16_e32 v123, v146, v187
	v_add_f16_e32 v108, v116, v108
	v_add_f16_e32 v116, v186, v143
	v_fma_f16 v110, v97, s19, v109
	v_add_f16_e32 v32, v46, v32
	v_add_f16_e32 v33, v70, v33
	v_add_f16_e32 v31, v34, v31
	v_fma_f16 v34, v90, s24, -v107
	v_mul_f16_e32 v198, 0x39e9, v97
	v_mul_f16_e32 v199, 0x3964, v102
	v_add_f16_e32 v164, v170, v164
	v_fma_f16 v170, v90, s23, v215
	v_add_f16_e32 v115, v123, v115
	v_sub_f16_e32 v123, v149, v193
	v_add_f16_e32 v108, v116, v108
	v_add_f16_e32 v116, v192, v148
	;; [unrolled: 1-line block ×6, first 2 shown]
	v_fma_f16 v34, v97, s19, -v109
	v_add_f16_e32 v164, v170, v164
	v_fma_f16 v170, v97, s17, v216
	v_add_f16_e32 v115, v123, v115
	v_sub_f16_e32 v123, v151, v199
	v_add_f16_e32 v108, v116, v108
	v_add_f16_e32 v116, v198, v150
	;; [unrolled: 1-line block ×3, first 2 shown]
	v_lshlrev_b32_e32 v34, 2, v154
	v_pack_b32_f16 v35, v105, v91
	v_pack_b32_f16 v32, v32, v33
	v_add_f16_e32 v164, v170, v164
	v_add_f16_e32 v115, v123, v115
	;; [unrolled: 1-line block ×3, first 2 shown]
	ds_write2_b32 v34, v32, v35 offset1:1
	v_pack_b32_f16 v32, v94, v101
	v_pack_b32_f16 v33, v84, v88
	ds_write2_b32 v34, v33, v32 offset0:2 offset1:3
	v_pack_b32_f16 v32, v108, v115
	v_pack_b32_f16 v33, v164, v159
	ds_write2_b32 v34, v32, v33 offset0:4 offset1:5
	v_pack_b32_f16 v32, v126, v51
	v_pack_b32_f16 v33, v158, v152
	ds_write2_b32 v34, v33, v32 offset0:6 offset1:7
	v_pack_b32_f16 v26, v153, v26
	v_pack_b32_f16 v32, v49, v47
	ds_write2_b32 v34, v32, v26 offset0:8 offset1:9
	buffer_load_dword v26, off, s[48:51], 0 offset:8 ; 4-byte Folded Reload
	buffer_load_dword v32, off, s[48:51], 0 offset:12 ; 4-byte Folded Reload
	s_mov_b32 s4, 0x5040100
	s_waitcnt vmcnt(0)
	v_pack_b32_f16 v26, v32, v26
	v_pack_b32_f16 v32, v245, v236
	ds_write2_b32 v34, v32, v26 offset0:10 offset1:11
	buffer_load_dword v26, off, s[48:51], 0 ; 4-byte Folded Reload
	buffer_load_dword v32, off, s[48:51], 0 offset:4 ; 4-byte Folded Reload
	s_waitcnt vmcnt(0)
	v_pack_b32_f16 v26, v32, v26
	v_perm_b32 v32, v55, v30, s4
	ds_write2_b32 v34, v26, v32 offset0:12 offset1:13
	v_perm_b32 v26, v54, v28, s4
	v_perm_b32 v32, v53, v27, s4
	ds_write2_b32 v34, v32, v26 offset0:14 offset1:15
	v_pack_b32_f16 v26, v31, v29
	ds_write_b32 v34, v26 offset:64
.LBB0_17:
	s_or_b64 exec, exec, s[2:3]
	s_waitcnt lgkmcnt(0)
	s_barrier
	ds_read2_b32 v[31:32], v48 offset1:136
	v_add_u32_e32 v26, 0x400, v48
	ds_read2_b32 v[33:34], v26 offset0:16 offset1:152
	v_add_u32_e32 v26, 0x800, v48
	ds_read2_b32 v[35:36], v26 offset0:32 offset1:168
	s_waitcnt lgkmcnt(2)
	v_lshrrev_b32_e32 v29, 16, v32
	v_add_u32_e32 v26, 0xc00, v48
	ds_read2_b32 v[37:38], v26 offset0:48 offset1:184
	v_mul_f16_sdwa v59, v4, v29 dst_sel:DWORD dst_unused:UNUSED_PAD src0_sel:WORD_1 src1_sel:DWORD
	s_waitcnt lgkmcnt(2)
	v_lshrrev_b32_e32 v26, 16, v33
	v_add_u32_e32 v39, 0x1000, v48
	v_fma_f16 v59, v4, v32, v59
	v_mul_f16_sdwa v32, v4, v32 dst_sel:DWORD dst_unused:UNUSED_PAD src0_sel:WORD_1 src1_sel:DWORD
	v_lshrrev_b32_e32 v43, 16, v34
	ds_read2_b32 v[39:40], v39 offset0:64 offset1:200
	v_fma_f16 v4, v4, v29, -v32
	v_mul_f16_sdwa v29, v5, v26 dst_sel:DWORD dst_unused:UNUSED_PAD src0_sel:WORD_1 src1_sel:DWORD
	v_mul_f16_sdwa v32, v5, v33 dst_sel:DWORD dst_unused:UNUSED_PAD src0_sel:WORD_1 src1_sel:DWORD
	s_waitcnt lgkmcnt(2)
	v_lshrrev_b32_e32 v44, 16, v35
	v_add_u32_e32 v41, 0x1400, v48
	v_fma_f16 v29, v5, v33, v29
	v_fma_f16 v5, v5, v26, -v32
	v_mul_f16_sdwa v26, v6, v43 dst_sel:DWORD dst_unused:UNUSED_PAD src0_sel:WORD_1 src1_sel:DWORD
	v_mul_f16_sdwa v32, v6, v34 dst_sel:DWORD dst_unused:UNUSED_PAD src0_sel:WORD_1 src1_sel:DWORD
	v_lshrrev_b32_e32 v45, 16, v36
	ds_read2_b32 v[41:42], v41 offset0:80 offset1:216
	v_fma_f16 v26, v6, v34, v26
	v_fma_f16 v6, v6, v43, -v32
	v_mul_f16_sdwa v32, v7, v44 dst_sel:DWORD dst_unused:UNUSED_PAD src0_sel:WORD_1 src1_sel:DWORD
	v_mul_f16_sdwa v33, v7, v35 dst_sel:DWORD dst_unused:UNUSED_PAD src0_sel:WORD_1 src1_sel:DWORD
	s_waitcnt lgkmcnt(2)
	v_lshrrev_b32_e32 v46, 16, v37
	v_fma_f16 v32, v7, v35, v32
	v_fma_f16 v7, v7, v44, -v33
	v_mul_f16_sdwa v33, v8, v45 dst_sel:DWORD dst_unused:UNUSED_PAD src0_sel:WORD_1 src1_sel:DWORD
	v_mul_f16_sdwa v34, v8, v36 dst_sel:DWORD dst_unused:UNUSED_PAD src0_sel:WORD_1 src1_sel:DWORD
	v_lshrrev_b32_e32 v47, 16, v38
	ds_read_b32 v49, v48 offset:6528
	v_fma_f16 v33, v8, v36, v33
	v_fma_f16 v8, v8, v45, -v34
	v_mul_f16_sdwa v34, v9, v46 dst_sel:DWORD dst_unused:UNUSED_PAD src0_sel:WORD_1 src1_sel:DWORD
	v_mul_f16_sdwa v35, v9, v37 dst_sel:DWORD dst_unused:UNUSED_PAD src0_sel:WORD_1 src1_sel:DWORD
	s_waitcnt lgkmcnt(2)
	v_lshrrev_b32_e32 v50, 16, v39
	v_fma_f16 v34, v9, v37, v34
	v_fma_f16 v9, v9, v46, -v35
	v_mul_f16_sdwa v35, v10, v47 dst_sel:DWORD dst_unused:UNUSED_PAD src0_sel:WORD_1 src1_sel:DWORD
	v_mul_f16_sdwa v36, v10, v38 dst_sel:DWORD dst_unused:UNUSED_PAD src0_sel:WORD_1 src1_sel:DWORD
	v_lshrrev_b32_e32 v51, 16, v40
	v_fma_f16 v35, v10, v38, v35
	v_fma_f16 v10, v10, v47, -v36
	v_mul_f16_sdwa v36, v11, v50 dst_sel:DWORD dst_unused:UNUSED_PAD src0_sel:WORD_1 src1_sel:DWORD
	v_mul_f16_sdwa v37, v11, v39 dst_sel:DWORD dst_unused:UNUSED_PAD src0_sel:WORD_1 src1_sel:DWORD
	s_waitcnt lgkmcnt(1)
	v_lshrrev_b32_e32 v56, 16, v41
	v_fma_f16 v36, v11, v39, v36
	v_fma_f16 v11, v11, v50, -v37
	v_mul_f16_sdwa v37, v12, v51 dst_sel:DWORD dst_unused:UNUSED_PAD src0_sel:WORD_1 src1_sel:DWORD
	v_mul_f16_sdwa v38, v12, v40 dst_sel:DWORD dst_unused:UNUSED_PAD src0_sel:WORD_1 src1_sel:DWORD
	v_lshrrev_b32_e32 v57, 16, v42
	v_fma_f16 v37, v12, v40, v37
	v_fma_f16 v12, v12, v51, -v38
	v_mul_f16_sdwa v38, v13, v56 dst_sel:DWORD dst_unused:UNUSED_PAD src0_sel:WORD_1 src1_sel:DWORD
	v_mul_f16_sdwa v39, v13, v41 dst_sel:DWORD dst_unused:UNUSED_PAD src0_sel:WORD_1 src1_sel:DWORD
	s_waitcnt lgkmcnt(0)
	v_lshrrev_b32_e32 v58, 16, v49
	v_fma_f16 v38, v13, v41, v38
	v_fma_f16 v13, v13, v56, -v39
	v_mul_f16_sdwa v39, v14, v57 dst_sel:DWORD dst_unused:UNUSED_PAD src0_sel:WORD_1 src1_sel:DWORD
	v_mul_f16_sdwa v40, v14, v42 dst_sel:DWORD dst_unused:UNUSED_PAD src0_sel:WORD_1 src1_sel:DWORD
	v_fma_f16 v39, v14, v42, v39
	v_fma_f16 v14, v14, v57, -v40
	v_mul_f16_sdwa v40, v15, v58 dst_sel:DWORD dst_unused:UNUSED_PAD src0_sel:WORD_1 src1_sel:DWORD
	v_mul_f16_sdwa v41, v15, v49 dst_sel:DWORD dst_unused:UNUSED_PAD src0_sel:WORD_1 src1_sel:DWORD
	v_fma_f16 v40, v15, v49, v40
	v_fma_f16 v15, v15, v58, -v41
	v_add_f16_e32 v41, v31, v59
	v_add_f16_sdwa v42, v31, v4 dst_sel:DWORD dst_unused:UNUSED_PAD src0_sel:WORD_1 src1_sel:DWORD
	v_add_f16_e32 v41, v41, v29
	v_add_f16_e32 v42, v42, v5
	;; [unrolled: 1-line block ×21, first 2 shown]
	v_sub_f16_e32 v4, v4, v15
	v_add_f16_e32 v41, v41, v40
	v_add_f16_e32 v42, v42, v15
	;; [unrolled: 1-line block ×3, first 2 shown]
	v_sub_f16_e32 v40, v59, v40
	s_mov_b32 s16, 0xb770
	v_mul_f16_e32 v15, 0xb770, v4
	s_movk_i32 s17, 0x3b15
	v_mul_f16_e32 v46, 0x3b15, v44
	s_movk_i32 s18, 0x3770
	s_mov_b32 s5, 0xba95
	v_mul_f16_e32 v49, 0xba95, v4
	s_movk_i32 s14, 0x388b
	v_mul_f16_e32 v51, 0x388b, v44
	s_movk_i32 s15, 0x3a95
	;; [unrolled: 5-line block ×3, first 2 shown]
	s_mov_b32 s19, 0xbb7b
	v_mul_f16_e32 v61, 0xbb7b, v4
	s_mov_b32 s20, 0xb5ac
	v_mul_f16_e32 v63, 0xb5ac, v44
	s_movk_i32 s21, 0x3b7b
	s_mov_b32 s22, 0xb94e
	v_mul_f16_e32 v65, 0xb94e, v4
	s_mov_b32 s23, 0xb9fd
	v_mul_f16_e32 v67, 0xb9fd, v44
	s_movk_i32 s24, 0x394e
	s_mov_b32 s25, 0xb3a8
	v_mul_f16_e32 v4, 0xb3a8, v4
	s_mov_b32 s26, 0xbbc4
	v_mul_f16_e32 v44, 0xbbc4, v44
	s_movk_i32 s27, 0x33a8
	v_fma_f16 v45, v43, s17, v15
	v_fma_f16 v47, v40, s18, v46
	v_fma_f16 v15, v43, s17, -v15
	v_fma_f16 v46, v40, s16, v46
	v_fma_f16 v50, v43, s14, v49
	v_fma_f16 v56, v40, s15, v51
	v_fma_f16 v49, v43, s14, -v49
	v_fma_f16 v51, v40, s5, v51
	;; [unrolled: 4-line block ×6, first 2 shown]
	v_add_f16_e32 v43, v5, v14
	v_sub_f16_e32 v5, v5, v14
	v_add_f16_e32 v45, v31, v45
	v_add_f16_sdwa v47, v31, v47 dst_sel:DWORD dst_unused:UNUSED_PAD src0_sel:WORD_1 src1_sel:DWORD
	v_add_f16_e32 v15, v31, v15
	v_add_f16_sdwa v46, v31, v46 dst_sel:DWORD dst_unused:UNUSED_PAD src0_sel:WORD_1 src1_sel:DWORD
	;; [unrolled: 2-line block ×12, first 2 shown]
	v_add_f16_e32 v40, v29, v39
	v_mul_f16_e32 v14, 0xba95, v5
	v_sub_f16_e32 v29, v29, v39
	v_fma_f16 v39, v40, s14, v14
	v_mul_f16_e32 v44, 0x388b, v43
	v_fma_f16 v14, v40, s14, -v14
	v_add_f16_e32 v39, v39, v45
	v_fma_f16 v45, v29, s15, v44
	v_add_f16_e32 v14, v14, v15
	v_fma_f16 v15, v29, s5, v44
	v_mul_f16_e32 v44, 0xbb7b, v5
	v_add_f16_e32 v45, v45, v47
	v_add_f16_e32 v15, v15, v46
	v_fma_f16 v46, v40, s20, v44
	v_mul_f16_e32 v47, 0xb5ac, v43
	v_fma_f16 v44, v40, s20, -v44
	v_add_f16_e32 v46, v46, v50
	v_fma_f16 v50, v29, s21, v47
	v_add_f16_e32 v44, v44, v49
	v_fma_f16 v47, v29, s19, v47
	v_mul_f16_e32 v49, 0xb3a8, v5
	v_add_f16_e32 v50, v50, v56
	v_add_f16_e32 v47, v47, v51
	;; [unrolled: 10-line block ×3, first 2 shown]
	v_fma_f16 v59, v40, s23, v57
	v_mul_f16_e32 v60, 0xb9fd, v43
	v_fma_f16 v57, v40, s23, -v57
	v_add_f16_e32 v59, v59, v62
	v_fma_f16 v62, v29, s22, v60
	v_add_f16_e32 v57, v57, v61
	v_fma_f16 v60, v29, s24, v60
	v_mul_f16_e32 v61, 0x3bf1, v5
	v_add_f16_e32 v60, v60, v63
	v_fma_f16 v63, v40, s3, v61
	v_fma_f16 v61, v40, s3, -v61
	v_mul_f16_e32 v5, 0x3770, v5
	v_add_f16_e32 v62, v62, v64
	v_mul_f16_e32 v64, 0x2fb7, v43
	v_add_f16_e32 v61, v61, v65
	v_fma_f16 v65, v40, s17, v5
	v_mul_f16_e32 v43, 0x3b15, v43
	v_fma_f16 v5, v40, s17, -v5
	v_add_f16_e32 v4, v5, v4
	v_fma_f16 v5, v29, s18, v43
	v_add_f16_e32 v63, v63, v66
	v_fma_f16 v66, v29, s2, v64
	v_fma_f16 v64, v29, s4, v64
	v_add_f16_e32 v5, v5, v31
	v_add_f16_e32 v31, v6, v13
	v_sub_f16_e32 v6, v6, v13
	v_add_f16_e32 v64, v64, v67
	v_fma_f16 v67, v29, s16, v43
	v_add_f16_e32 v29, v26, v38
	v_mul_f16_e32 v13, 0xbbf1, v6
	v_sub_f16_e32 v26, v26, v38
	v_fma_f16 v38, v29, s3, v13
	v_add_f16_e32 v38, v38, v39
	v_mul_f16_e32 v39, 0x2fb7, v31
	v_fma_f16 v13, v29, s3, -v13
	v_add_f16_e32 v13, v13, v14
	v_fma_f16 v14, v26, s2, v39
	v_add_f16_e32 v14, v14, v15
	v_mul_f16_e32 v15, 0xb3a8, v6
	v_fma_f16 v40, v26, s4, v39
	v_fma_f16 v39, v29, s26, v15
	v_fma_f16 v15, v29, s26, -v15
	v_mul_f16_e32 v43, 0xbbc4, v31
	v_add_f16_e32 v15, v15, v44
	v_mul_f16_e32 v44, 0x3b7b, v6
	v_add_f16_e32 v40, v40, v45
	v_add_f16_e32 v39, v39, v46
	v_fma_f16 v45, v26, s27, v43
	v_fma_f16 v43, v26, s25, v43
	;; [unrolled: 1-line block ×3, first 2 shown]
	v_fma_f16 v44, v29, s20, -v44
	v_add_f16_e32 v43, v43, v47
	v_mul_f16_e32 v47, 0xb5ac, v31
	v_add_f16_e32 v44, v44, v49
	v_mul_f16_e32 v49, 0x3770, v6
	v_add_f16_e32 v45, v45, v50
	v_add_f16_e32 v46, v46, v51
	v_fma_f16 v50, v26, s19, v47
	v_fma_f16 v47, v26, s21, v47
	;; [unrolled: 1-line block ×3, first 2 shown]
	v_fma_f16 v49, v29, s17, -v49
	v_add_f16_e32 v47, v47, v56
	v_mul_f16_e32 v56, 0x3b15, v31
	v_add_f16_e32 v49, v49, v57
	v_mul_f16_e32 v57, 0xba95, v6
	v_add_f16_e32 v50, v50, v58
	v_add_f16_e32 v51, v51, v59
	v_fma_f16 v58, v26, s16, v56
	v_fma_f16 v56, v26, s18, v56
	;; [unrolled: 1-line block ×3, first 2 shown]
	v_fma_f16 v57, v29, s14, -v57
	v_mul_f16_e32 v6, 0xb94e, v6
	v_add_f16_e32 v56, v56, v60
	v_mul_f16_e32 v60, 0x388b, v31
	v_add_f16_e32 v57, v57, v61
	v_fma_f16 v61, v29, s23, v6
	v_mul_f16_e32 v31, 0xb9fd, v31
	v_fma_f16 v6, v29, s23, -v6
	v_add_f16_e32 v58, v58, v62
	v_add_f16_e32 v59, v59, v63
	v_fma_f16 v62, v26, s15, v60
	v_fma_f16 v60, v26, s5, v60
	;; [unrolled: 1-line block ×3, first 2 shown]
	v_add_f16_e32 v4, v6, v4
	v_fma_f16 v6, v26, s22, v31
	v_add_f16_e32 v26, v7, v12
	v_sub_f16_e32 v7, v7, v12
	v_add_f16_e32 v5, v6, v5
	v_add_f16_e32 v6, v32, v37
	v_mul_f16_e32 v12, 0xbb7b, v7
	v_sub_f16_e32 v29, v32, v37
	v_fma_f16 v31, v6, s20, v12
	v_mul_f16_e32 v32, 0xb5ac, v26
	v_fma_f16 v12, v6, s20, -v12
	v_add_f16_e32 v12, v12, v13
	v_fma_f16 v13, v29, s19, v32
	v_add_f16_e32 v13, v13, v14
	v_mul_f16_e32 v14, 0x394e, v7
	v_add_f16_e32 v31, v31, v38
	v_fma_f16 v37, v29, s21, v32
	v_fma_f16 v32, v6, s23, v14
	v_mul_f16_e32 v38, 0xb9fd, v26
	v_fma_f16 v14, v6, s23, -v14
	v_add_f16_e32 v32, v32, v39
	v_fma_f16 v39, v29, s22, v38
	v_add_f16_e32 v14, v14, v15
	v_fma_f16 v15, v29, s24, v38
	v_mul_f16_e32 v38, 0x3770, v7
	v_add_f16_e32 v37, v37, v40
	v_fma_f16 v40, v6, s17, v38
	v_fma_f16 v38, v6, s17, -v38
	v_add_f16_e32 v15, v15, v43
	v_mul_f16_e32 v43, 0x3b15, v26
	v_add_f16_e32 v38, v38, v44
	v_mul_f16_e32 v44, 0xbbf1, v7
	v_add_f16_e32 v39, v39, v45
	v_add_f16_e32 v40, v40, v46
	v_fma_f16 v45, v29, s16, v43
	v_fma_f16 v43, v29, s18, v43
	;; [unrolled: 1-line block ×3, first 2 shown]
	v_fma_f16 v44, v6, s3, -v44
	v_add_f16_e32 v43, v43, v47
	v_mul_f16_e32 v47, 0x2fb7, v26
	v_add_f16_e32 v44, v44, v49
	v_mul_f16_e32 v49, 0x33a8, v7
	v_add_f16_e32 v45, v45, v50
	v_add_f16_e32 v46, v46, v51
	v_fma_f16 v50, v29, s4, v47
	v_fma_f16 v47, v29, s2, v47
	;; [unrolled: 1-line block ×3, first 2 shown]
	v_fma_f16 v49, v6, s26, -v49
	v_mul_f16_e32 v7, 0x3a95, v7
	v_add_f16_e32 v47, v47, v56
	v_mul_f16_e32 v56, 0xbbc4, v26
	v_add_f16_e32 v49, v49, v57
	v_fma_f16 v57, v6, s14, v7
	v_mul_f16_e32 v26, 0x388b, v26
	v_fma_f16 v6, v6, s14, -v7
	v_add_f16_e32 v4, v6, v4
	v_fma_f16 v6, v29, s15, v26
	v_add_f16_e32 v7, v8, v11
	v_sub_f16_e32 v8, v8, v11
	v_add_f16_e32 v5, v6, v5
	v_add_f16_e32 v6, v33, v36
	v_mul_f16_e32 v11, 0xb94e, v8
	v_add_f16_e32 v50, v50, v58
	v_add_f16_e32 v51, v51, v59
	v_fma_f16 v58, v29, s25, v56
	v_fma_f16 v56, v29, s27, v56
	;; [unrolled: 1-line block ×4, first 2 shown]
	v_sub_f16_e32 v26, v33, v36
	v_add_f16_e32 v29, v29, v31
	v_mul_f16_e32 v31, 0xb9fd, v7
	v_fma_f16 v11, v6, s23, -v11
	v_add_f16_e32 v11, v11, v12
	v_fma_f16 v12, v26, s22, v31
	v_add_f16_e32 v12, v12, v13
	v_mul_f16_e32 v13, 0x3bf1, v8
	v_fma_f16 v33, v26, s24, v31
	v_fma_f16 v31, v6, s3, v13
	v_add_f16_e32 v32, v31, v32
	v_mul_f16_e32 v31, 0x2fb7, v7
	v_fma_f16 v13, v6, s3, -v13
	v_add_f16_e32 v13, v13, v14
	v_fma_f16 v14, v26, s4, v31
	v_add_f16_e32 v14, v14, v15
	v_mul_f16_e32 v15, 0xba95, v8
	v_fma_f16 v36, v26, s2, v31
	v_fma_f16 v31, v6, s14, v15
	v_add_f16_e32 v33, v33, v37
	v_add_f16_e32 v37, v31, v40
	v_mul_f16_e32 v31, 0x388b, v7
	v_add_f16_e32 v36, v36, v39
	v_fma_f16 v39, v26, s15, v31
	v_fma_f16 v15, v6, s14, -v15
	v_fma_f16 v31, v26, s5, v31
	v_add_f16_e32 v15, v15, v38
	v_add_f16_e32 v38, v31, v43
	v_mul_f16_e32 v31, 0x33a8, v8
	v_fma_f16 v40, v6, s26, v31
	v_mul_f16_e32 v43, 0xbbc4, v7
	v_fma_f16 v31, v6, s26, -v31
	v_add_f16_e32 v44, v31, v44
	v_fma_f16 v31, v26, s27, v43
	v_add_f16_e32 v39, v39, v45
	v_fma_f16 v45, v26, s25, v43
	v_add_f16_e32 v43, v31, v47
	v_mul_f16_e32 v31, 0x3770, v8
	v_add_f16_e32 v66, v66, v68
	v_add_f16_e32 v60, v60, v64
	;; [unrolled: 1-line block ×3, first 2 shown]
	v_fma_f16 v46, v6, s17, v31
	v_mul_f16_e32 v47, 0x3b15, v7
	v_fma_f16 v31, v6, s17, -v31
	v_add_f16_e32 v65, v65, v69
	v_add_f16_e32 v62, v62, v66
	v_add_f16_e32 v56, v56, v60
	v_add_f16_e32 v49, v31, v49
	v_fma_f16 v31, v26, s18, v47
	v_mul_f16_e32 v8, 0xbb7b, v8
	v_add_f16_e32 v61, v61, v65
	v_add_f16_e32 v58, v58, v62
	;; [unrolled: 1-line block ×3, first 2 shown]
	v_fma_f16 v50, v26, s16, v47
	v_add_f16_e32 v47, v31, v56
	v_fma_f16 v31, v6, s20, v8
	v_mul_f16_e32 v7, 0xb5ac, v7
	v_fma_f16 v6, v6, s20, -v8
	v_add_f16_e32 v67, v67, v70
	v_add_f16_e32 v57, v57, v61
	;; [unrolled: 1-line block ×4, first 2 shown]
	v_fma_f16 v4, v26, s19, v7
	v_add_f16_e32 v58, v9, v10
	v_sub_f16_e32 v9, v9, v10
	v_add_f16_e32 v63, v63, v67
	v_add_f16_e32 v46, v46, v51
	;; [unrolled: 1-line block ×3, first 2 shown]
	v_fma_f16 v31, v26, s21, v7
	v_add_f16_e32 v26, v4, v5
	v_add_f16_e32 v57, v34, v35
	v_mul_f16_e32 v4, 0xb3a8, v9
	v_add_f16_e32 v59, v59, v63
	v_fma_f16 v5, v57, s26, v4
	v_add_f16_e32 v56, v31, v59
	v_sub_f16_e32 v59, v34, v35
	v_add_f16_e32 v10, v5, v29
	v_mul_f16_e32 v5, 0xbbc4, v58
	v_fma_f16 v4, v57, s26, -v4
	v_add_f16_e32 v29, v4, v11
	v_fma_f16 v4, v59, s25, v5
	v_add_f16_e32 v31, v4, v12
	v_mul_f16_e32 v4, 0x3770, v9
	v_fma_f16 v6, v59, s27, v5
	v_fma_f16 v5, v57, s17, v4
	v_add_f16_e32 v11, v5, v32
	v_mul_f16_e32 v5, 0x3b15, v58
	v_fma_f16 v4, v57, s17, -v4
	v_add_f16_e32 v7, v4, v13
	v_fma_f16 v4, v59, s18, v5
	v_add_f16_e32 v34, v4, v14
	v_mul_f16_e32 v4, 0xb94e, v9
	v_add_f16_e32 v60, v6, v33
	v_fma_f16 v6, v59, s16, v5
	v_fma_f16 v5, v57, s23, v4
	v_add_f16_e32 v13, v5, v37
	v_mul_f16_e32 v5, 0xb9fd, v58
	v_add_f16_e32 v12, v6, v36
	v_fma_f16 v6, v59, s24, v5
	v_fma_f16 v4, v57, s23, -v4
	v_add_f16_e32 v14, v6, v39
	v_add_f16_e32 v6, v4, v15
	v_fma_f16 v4, v59, s22, v5
	v_add_f16_e32 v33, v4, v38
	v_mul_f16_e32 v4, 0x3a95, v9
	v_fma_f16 v5, v57, s14, v4
	v_mul_f16_e32 v32, 0x388b, v58
	v_add_f16_e32 v15, v5, v40
	v_fma_f16 v5, v59, s5, v32
	v_fma_f16 v4, v57, s14, -v4
	v_add_f16_e32 v36, v5, v45
	v_add_f16_e32 v5, v4, v44
	v_fma_f16 v4, v59, s15, v32
	v_add_f16_e32 v35, v4, v43
	v_mul_f16_e32 v4, 0xbb7b, v9
	v_mul_f16_e32 v9, 0x3bf1, v9
	v_fma_f16 v32, v57, s20, v4
	v_fma_f16 v39, v57, s3, v9
	v_mul_f16_e32 v40, 0x2fb7, v58
	v_fma_f16 v9, v57, s3, -v9
	v_add_f16_e32 v37, v32, v46
	v_mul_f16_e32 v32, 0xb5ac, v58
	v_add_f16_e32 v8, v9, v8
	v_fma_f16 v9, v59, s4, v40
	v_fma_f16 v38, v59, s21, v32
	v_add_f16_e32 v9, v9, v26
	v_pack_b32_f16 v26, v41, v42
	v_pack_b32_f16 v10, v10, v60
	v_add_f16_e32 v38, v38, v50
	v_fma_f16 v43, v59, s2, v40
	s_barrier
	ds_write2_b32 v52, v26, v10 offset1:17
	v_pack_b32_f16 v10, v11, v12
	v_pack_b32_f16 v11, v13, v14
	v_fma_f16 v4, v57, s20, -v4
	v_fma_f16 v32, v59, s19, v32
	v_add_f16_e32 v39, v39, v51
	v_add_f16_e32 v43, v43, v56
	ds_write2_b32 v52, v10, v11 offset0:34 offset1:51
	v_pack_b32_f16 v10, v15, v36
	v_pack_b32_f16 v11, v37, v38
	v_add_f16_e32 v4, v4, v49
	v_add_f16_e32 v32, v32, v47
	ds_write2_b32 v52, v10, v11 offset0:68 offset1:85
	v_pack_b32_f16 v10, v39, v43
	v_pack_b32_f16 v8, v8, v9
	ds_write2_b32 v52, v10, v8 offset0:102 offset1:119
	v_pack_b32_f16 v8, v4, v32
	v_pack_b32_f16 v9, v5, v35
	;; [unrolled: 3-line block ×3, first 2 shown]
	ds_write2_b32 v52, v8, v9 offset0:170 offset1:187
	v_pack_b32_f16 v8, v29, v31
	v_add_u32_e32 v36, 0x680, v48
	v_add_u32_e32 v37, 0xd80, v48
	;; [unrolled: 1-line block ×3, first 2 shown]
	ds_write_b32 v52, v8 offset:816
	s_waitcnt lgkmcnt(0)
	s_barrier
	ds_read2_b32 v[8:9], v48 offset1:221
	ds_read2_b32 v[14:15], v36 offset0:26 offset1:247
	ds_read2_b32 v[12:13], v37 offset0:20 offset1:241
	;; [unrolled: 1-line block ×3, first 2 shown]
	s_and_saveexec_b64 s[2:3], s[0:1]
	s_cbranch_execz .LBB0_19
; %bb.18:
	v_add_u32_e32 v26, 0xf80, v48
	v_add_u32_e32 v4, 0x200, v48
	;; [unrolled: 1-line block ×3, first 2 shown]
	ds_read2_b32 v[29:30], v26 offset0:28 offset1:249
	v_add_u32_e32 v26, 0x1680, v48
	ds_read2_b32 v[4:5], v4 offset0:8 offset1:229
	ds_read2_b32 v[6:7], v6 offset0:2 offset1:223
	;; [unrolled: 1-line block ×3, first 2 shown]
	s_waitcnt lgkmcnt(3)
	v_lshrrev_b32_e32 v31, 16, v29
	v_lshrrev_b32_e32 v55, 16, v30
	s_waitcnt lgkmcnt(2)
	v_lshrrev_b32_e32 v32, 16, v4
	v_lshrrev_b32_e32 v35, 16, v5
	;; [unrolled: 3-line block ×4, first 2 shown]
.LBB0_19:
	s_or_b64 exec, exec, s[2:3]
	s_waitcnt lgkmcnt(3)
	v_lshrrev_b32_e32 v39, 16, v9
	v_mul_f16_sdwa v46, v16, v39 dst_sel:DWORD dst_unused:UNUSED_PAD src0_sel:WORD_1 src1_sel:DWORD
	s_waitcnt lgkmcnt(2)
	v_lshrrev_b32_e32 v40, 16, v14
	v_fma_f16 v46, v16, v9, v46
	v_mul_f16_sdwa v9, v16, v9 dst_sel:DWORD dst_unused:UNUSED_PAD src0_sel:WORD_1 src1_sel:DWORD
	v_fma_f16 v9, v16, v39, -v9
	v_mul_f16_sdwa v16, v17, v40 dst_sel:DWORD dst_unused:UNUSED_PAD src0_sel:WORD_1 src1_sel:DWORD
	v_lshrrev_b32_e32 v41, 16, v15
	v_fma_f16 v16, v17, v14, v16
	v_mul_f16_sdwa v14, v17, v14 dst_sel:DWORD dst_unused:UNUSED_PAD src0_sel:WORD_1 src1_sel:DWORD
	v_fma_f16 v14, v17, v40, -v14
	v_mul_f16_sdwa v17, v18, v41 dst_sel:DWORD dst_unused:UNUSED_PAD src0_sel:WORD_1 src1_sel:DWORD
	s_waitcnt lgkmcnt(1)
	v_lshrrev_b32_e32 v42, 16, v12
	v_fma_f16 v17, v18, v15, v17
	v_mul_f16_sdwa v15, v18, v15 dst_sel:DWORD dst_unused:UNUSED_PAD src0_sel:WORD_1 src1_sel:DWORD
	v_fma_f16 v15, v18, v41, -v15
	v_mul_f16_sdwa v18, v19, v42 dst_sel:DWORD dst_unused:UNUSED_PAD src0_sel:WORD_1 src1_sel:DWORD
	v_lshrrev_b32_e32 v43, 16, v13
	v_fma_f16 v18, v19, v12, v18
	v_mul_f16_sdwa v12, v19, v12 dst_sel:DWORD dst_unused:UNUSED_PAD src0_sel:WORD_1 src1_sel:DWORD
	v_fma_f16 v12, v19, v42, -v12
	;; [unrolled: 11-line block ×3, first 2 shown]
	v_mul_f16_sdwa v24, v25, v45 dst_sel:DWORD dst_unused:UNUSED_PAD src0_sel:WORD_1 src1_sel:DWORD
	v_fma_f16 v24, v25, v11, v24
	v_mul_f16_sdwa v11, v25, v11 dst_sel:DWORD dst_unused:UNUSED_PAD src0_sel:WORD_1 src1_sel:DWORD
	v_lshrrev_b32_e32 v26, 16, v8
	v_fma_f16 v11, v25, v45, -v11
	v_sub_f16_e32 v18, v8, v18
	v_sub_f16_e32 v12, v26, v12
	v_sub_f16_e32 v23, v16, v23
	v_sub_f16_e32 v10, v14, v10
	v_sub_f16_e32 v19, v46, v19
	v_sub_f16_e32 v13, v9, v13
	v_sub_f16_e32 v24, v17, v24
	v_sub_f16_e32 v11, v15, v11
	v_fma_f16 v8, v8, 2.0, -v18
	v_fma_f16 v25, v26, 2.0, -v12
	;; [unrolled: 1-line block ×8, first 2 shown]
	v_add_f16_e32 v10, v18, v10
	v_sub_f16_e32 v23, v12, v23
	v_add_f16_e32 v11, v19, v11
	v_sub_f16_e32 v24, v13, v24
	v_sub_f16_e32 v16, v8, v16
	;; [unrolled: 1-line block ×3, first 2 shown]
	v_fma_f16 v18, v18, 2.0, -v10
	v_fma_f16 v12, v12, 2.0, -v23
	v_sub_f16_e32 v17, v26, v17
	v_sub_f16_e32 v15, v9, v15
	v_fma_f16 v19, v19, 2.0, -v11
	v_fma_f16 v13, v13, 2.0, -v24
	s_mov_b32 s4, 0xb9a8
	v_fma_f16 v8, v8, 2.0, -v16
	v_fma_f16 v25, v25, 2.0, -v14
	;; [unrolled: 1-line block ×4, first 2 shown]
	v_fma_f16 v39, v19, s4, v18
	v_fma_f16 v40, v13, s4, v12
	s_movk_i32 s5, 0x39a8
	v_sub_f16_e32 v26, v8, v26
	v_sub_f16_e32 v9, v25, v9
	v_fma_f16 v13, v13, s5, v39
	v_fma_f16 v19, v19, s4, v40
	;; [unrolled: 1-line block ×4, first 2 shown]
	v_fma_f16 v8, v8, 2.0, -v26
	v_fma_f16 v25, v25, 2.0, -v9
	;; [unrolled: 1-line block ×4, first 2 shown]
	v_add_f16_e32 v15, v16, v15
	v_sub_f16_e32 v17, v14, v17
	v_fma_f16 v24, v24, s5, v39
	v_fma_f16 v11, v11, s4, v40
	v_fma_f16 v16, v16, 2.0, -v15
	v_fma_f16 v14, v14, 2.0, -v17
	;; [unrolled: 1-line block ×4, first 2 shown]
	v_pack_b32_f16 v8, v8, v25
	v_pack_b32_f16 v12, v18, v12
	ds_write2_b32 v48, v8, v12 offset1:221
	v_pack_b32_f16 v8, v16, v14
	v_pack_b32_f16 v10, v10, v23
	ds_write2_b32 v36, v8, v10 offset0:26 offset1:247
	v_pack_b32_f16 v8, v26, v9
	v_pack_b32_f16 v9, v13, v19
	ds_write2_b32 v37, v8, v9 offset0:20 offset1:241
	;; [unrolled: 3-line block ×3, first 2 shown]
	s_and_saveexec_b64 s[2:3], s[0:1]
	s_cbranch_execz .LBB0_21
; %bb.20:
	v_mul_f16_sdwa v12, v0, v5 dst_sel:DWORD dst_unused:UNUSED_PAD src0_sel:WORD_1 src1_sel:DWORD
	v_mul_f16_sdwa v17, v0, v35 dst_sel:DWORD dst_unused:UNUSED_PAD src0_sel:WORD_1 src1_sel:DWORD
	v_fma_f16 v12, v0, v35, -v12
	v_mul_f16_sdwa v13, v20, v30 dst_sel:DWORD dst_unused:UNUSED_PAD src0_sel:WORD_1 src1_sel:DWORD
	v_mul_f16_sdwa v14, v2, v34 dst_sel:DWORD dst_unused:UNUSED_PAD src0_sel:WORD_1 src1_sel:DWORD
	v_fma_f16 v0, v0, v5, v17
	v_mul_f16_sdwa v5, v20, v55 dst_sel:DWORD dst_unused:UNUSED_PAD src0_sel:WORD_1 src1_sel:DWORD
	v_mul_f16_sdwa v10, v3, v31 dst_sel:DWORD dst_unused:UNUSED_PAD src0_sel:WORD_1 src1_sel:DWORD
	v_fma_f16 v13, v20, v55, -v13
	v_fma_f16 v14, v2, v7, v14
	v_mul_f16_sdwa v7, v2, v7 dst_sel:DWORD dst_unused:UNUSED_PAD src0_sel:WORD_1 src1_sel:DWORD
	v_fma_f16 v5, v20, v30, v5
	v_mul_f16_sdwa v20, v3, v29 dst_sel:DWORD dst_unused:UNUSED_PAD src0_sel:WORD_1 src1_sel:DWORD
	v_mul_f16_sdwa v8, v1, v6 dst_sel:DWORD dst_unused:UNUSED_PAD src0_sel:WORD_1 src1_sel:DWORD
	;; [unrolled: 1-line block ×3, first 2 shown]
	v_fma_f16 v10, v3, v29, v10
	v_fma_f16 v2, v2, v34, -v7
	v_mul_f16_sdwa v7, v22, v28 dst_sel:DWORD dst_unused:UNUSED_PAD src0_sel:WORD_1 src1_sel:DWORD
	v_fma_f16 v3, v3, v31, -v20
	v_mul_f16_sdwa v20, v1, v33 dst_sel:DWORD dst_unused:UNUSED_PAD src0_sel:WORD_1 src1_sel:DWORD
	v_fma_f16 v8, v1, v33, -v8
	v_fma_f16 v9, v21, v53, -v9
	v_mul_f16_sdwa v15, v22, v54 dst_sel:DWORD dst_unused:UNUSED_PAD src0_sel:WORD_1 src1_sel:DWORD
	v_fma_f16 v7, v22, v54, -v7
	v_fma_f16 v1, v1, v6, v20
	v_mul_f16_sdwa v6, v21, v53 dst_sel:DWORD dst_unused:UNUSED_PAD src0_sel:WORD_1 src1_sel:DWORD
	v_sub_f16_e32 v9, v8, v9
	v_sub_f16_e32 v10, v4, v10
	v_fma_f16 v15, v22, v28, v15
	v_sub_f16_e32 v7, v2, v7
	v_sub_f16_e32 v5, v0, v5
	v_fma_f16 v6, v21, v27, v6
	v_add_f16_e32 v11, v9, v10
	v_sub_f16_e32 v13, v12, v13
	v_sub_f16_e32 v15, v14, v15
	v_add_f16_e32 v17, v7, v5
	v_sub_f16_e32 v3, v32, v3
	v_sub_f16_e32 v6, v1, v6
	;; [unrolled: 1-line block ×3, first 2 shown]
	v_fma_f16 v18, v17, s5, v11
	v_sub_f16_e32 v20, v3, v6
	v_fma_f16 v4, v4, 2.0, -v10
	v_fma_f16 v1, v1, 2.0, -v6
	;; [unrolled: 1-line block ×4, first 2 shown]
	v_fma_f16 v18, v16, s5, v18
	v_sub_f16_e32 v1, v4, v1
	v_sub_f16_e32 v2, v6, v2
	v_fma_f16 v23, v32, 2.0, -v3
	v_fma_f16 v8, v8, 2.0, -v9
	;; [unrolled: 1-line block ×7, first 2 shown]
	v_add_f16_e32 v7, v1, v2
	v_sub_f16_e32 v8, v23, v8
	v_sub_f16_e32 v9, v0, v9
	v_fma_f16 v11, v13, 2.0, -v16
	v_fma_f16 v13, v5, s4, v10
	v_fma_f16 v3, v3, 2.0, -v20
	v_fma_f16 v12, v1, 2.0, -v7
	v_fma_f16 v13, v11, s5, v13
	v_fma_f16 v11, v11, s4, v3
	v_fma_f16 v1, v4, 2.0, -v1
	v_fma_f16 v0, v0, 2.0, -v9
	;; [unrolled: 1-line block ×4, first 2 shown]
	v_fma_f16 v21, v16, s5, v20
	v_fma_f16 v5, v5, s4, v11
	v_sub_f16_e32 v0, v1, v0
	v_sub_f16_e32 v2, v4, v2
	v_fma_f16 v21, v17, s4, v21
	v_sub_f16_e32 v14, v8, v9
	v_fma_f16 v10, v10, 2.0, -v13
	v_fma_f16 v3, v3, 2.0, -v5
	;; [unrolled: 1-line block ×6, first 2 shown]
	v_pack_b32_f16 v1, v1, v4
	v_pack_b32_f16 v3, v10, v3
	v_add_u32_e32 v4, 0x200, v48
	ds_write2_b32 v4, v1, v3 offset0:8 offset1:229
	v_pack_b32_f16 v1, v12, v15
	v_pack_b32_f16 v3, v19, v22
	v_add_u32_e32 v4, 0x900, v48
	ds_write2_b32 v4, v1, v3 offset0:2 offset1:223
	;; [unrolled: 4-line block ×4, first 2 shown]
.LBB0_21:
	s_or_b64 exec, exec, s[2:3]
	s_waitcnt lgkmcnt(0)
	s_barrier
	s_and_b64 exec, exec, vcc
	s_cbranch_execz .LBB0_23
; %bb.22:
	global_load_dword v8, v48, s[6:7]
	ds_read_b32 v9, v48
	v_mad_u64_u32 v[0:1], s[0:1], s10, v173, 0
	v_mov_b32_e32 v2, 0x7c00
	v_mad_u64_u32 v[3:4], s[0:1], s8, v172, 0
	v_mad_u64_u32 v[5:6], s[0:1], s11, v173, v[1:2]
	s_mov_b32 s14, 0x1288b013
	s_mov_b32 s15, 0x3f4288b0
	v_mad_u64_u32 v[6:7], s[0:1], s9, v172, v[4:5]
	s_waitcnt lgkmcnt(0)
	v_lshrrev_b32_e32 v7, 16, v9
	v_mov_b32_e32 v1, v5
	v_mov_b32_e32 v4, v6
	v_lshlrev_b64 v[0:1], 2, v[0:1]
	v_mov_b32_e32 v11, s13
	s_movk_i32 s16, 0x1ff
	s_movk_i32 s10, 0xffe
	s_movk_i32 s18, 0x40f
	s_mov_b32 s17, 0x8000
	s_mul_i32 s11, s8, 0x1a0
	s_waitcnt vmcnt(0)
	v_mul_f16_sdwa v5, v7, v8 dst_sel:DWORD dst_unused:UNUSED_PAD src0_sel:DWORD src1_sel:WORD_1
	v_fma_f16 v5, v9, v8, v5
	v_mul_f16_sdwa v6, v9, v8 dst_sel:DWORD dst_unused:UNUSED_PAD src0_sel:DWORD src1_sel:WORD_1
	v_cvt_f32_f16_e32 v5, v5
	v_fma_f16 v6, v8, v7, -v6
	v_cvt_f32_f16_e32 v9, v6
	v_lshlrev_b64 v[7:8], 2, v[3:4]
	v_cvt_f64_f32_e32 v[5:6], v5
	v_add_co_u32_e32 v3, vcc, s12, v0
	v_cvt_f64_f32_e32 v[9:10], v9
	v_mul_f64 v[5:6], v[5:6], s[14:15]
	v_addc_co_u32_e32 v4, vcc, v11, v1, vcc
	v_mul_f64 v[0:1], v[9:10], s[14:15]
	v_add_co_u32_e32 v7, vcc, v3, v7
	v_addc_co_u32_e32 v8, vcc, v4, v8, vcc
	v_and_or_b32 v5, v6, s16, v5
	v_cmp_ne_u32_e32 vcc, 0, v5
	v_lshrrev_b32_e32 v9, 8, v6
	v_and_or_b32 v0, v1, s16, v0
	v_bfe_u32 v10, v6, 20, 11
	v_cndmask_b32_e64 v5, 0, 1, vcc
	v_cmp_ne_u32_e32 vcc, 0, v0
	v_lshrrev_b32_e32 v11, 8, v1
	v_bfe_u32 v12, v1, 20, 11
	v_sub_u32_e32 v13, 0x3f1, v10
	v_cndmask_b32_e64 v0, 0, 1, vcc
	v_and_or_b32 v5, v9, s10, v5
	v_sub_u32_e32 v14, 0x3f1, v12
	v_med3_i32 v9, v13, 0, 13
	v_and_or_b32 v0, v11, s10, v0
	v_or_b32_e32 v13, 0x1000, v5
	v_add_u32_e32 v10, 0xfffffc10, v10
	v_med3_i32 v11, v14, 0, 13
	v_cmp_ne_u32_e32 vcc, 0, v5
	v_or_b32_e32 v15, 0x1000, v0
	v_lshrrev_b32_e32 v17, v9, v13
	v_add_u32_e32 v12, 0xfffffc10, v12
	v_lshl_or_b32 v14, v10, 12, v5
	v_cndmask_b32_e64 v5, 0, 1, vcc
	v_cmp_ne_u32_e32 vcc, 0, v0
	v_lshrrev_b32_e32 v18, v11, v15
	v_lshlrev_b32_e32 v9, v9, v17
	v_lshl_or_b32 v16, v12, 12, v0
	v_cndmask_b32_e64 v0, 0, 1, vcc
	v_lshlrev_b32_e32 v11, v11, v18
	v_cmp_ne_u32_e32 vcc, v9, v13
	v_cndmask_b32_e64 v9, 0, 1, vcc
	v_cmp_ne_u32_e32 vcc, v11, v15
	v_cndmask_b32_e64 v11, 0, 1, vcc
	v_or_b32_e32 v9, v17, v9
	v_cmp_gt_i32_e32 vcc, 1, v10
	v_cndmask_b32_e32 v9, v14, v9, vcc
	v_or_b32_e32 v11, v18, v11
	v_cmp_gt_i32_e32 vcc, 1, v12
	v_and_b32_e32 v13, 7, v9
	v_cndmask_b32_e32 v11, v16, v11, vcc
	v_cmp_lt_i32_e32 vcc, 5, v13
	v_cmp_eq_u32_e64 s[0:1], 3, v13
	v_lshrrev_b32_e32 v9, 2, v9
	v_and_b32_e32 v14, 7, v11
	s_or_b64 vcc, s[0:1], vcc
	v_cmp_lt_i32_e64 s[2:3], 5, v14
	v_cmp_eq_u32_e64 s[4:5], 3, v14
	v_addc_co_u32_e32 v9, vcc, 0, v9, vcc
	v_lshrrev_b32_e32 v11, 2, v11
	s_or_b64 vcc, s[4:5], s[2:3]
	v_addc_co_u32_e32 v11, vcc, 0, v11, vcc
	v_cmp_gt_i32_e32 vcc, 31, v10
	v_cndmask_b32_e32 v9, v2, v9, vcc
	v_cmp_gt_i32_e32 vcc, 31, v12
	v_lshl_or_b32 v5, v5, 9, v2
	v_cndmask_b32_e32 v11, v2, v11, vcc
	v_cmp_eq_u32_e32 vcc, s18, v10
	v_lshrrev_b32_e32 v6, 16, v6
	v_lshl_or_b32 v0, v0, 9, v2
	v_cndmask_b32_e32 v5, v9, v5, vcc
	v_cmp_eq_u32_e32 vcc, s18, v12
	v_lshrrev_b32_e32 v1, 16, v1
	v_cndmask_b32_e32 v0, v11, v0, vcc
	v_and_or_b32 v5, v6, s17, v5
	v_and_or_b32 v0, v1, s17, v0
	v_and_b32_e32 v1, 0xffff, v5
	v_lshl_or_b32 v0, v0, 16, v1
	global_store_dword v[7:8], v0, off
	global_load_dword v5, v48, s[6:7] offset:416
	ds_read2_b32 v[0:1], v48 offset0:104 offset1:208
	s_mul_i32 s0, s9, 0x1a0
	s_mul_hi_u32 s12, s8, 0x1a0
	s_add_i32 s12, s12, s0
	v_add_co_u32_e32 v7, vcc, s11, v7
	s_waitcnt lgkmcnt(0)
	v_lshrrev_b32_e32 v6, 16, v0
	s_waitcnt vmcnt(0)
	v_mul_f16_sdwa v9, v6, v5 dst_sel:DWORD dst_unused:UNUSED_PAD src0_sel:DWORD src1_sel:WORD_1
	v_fma_f16 v9, v0, v5, v9
	v_mul_f16_sdwa v0, v0, v5 dst_sel:DWORD dst_unused:UNUSED_PAD src0_sel:DWORD src1_sel:WORD_1
	v_cvt_f32_f16_e32 v9, v9
	v_fma_f16 v0, v5, v6, -v0
	v_cvt_f32_f16_e32 v0, v0
	v_cvt_f64_f32_e32 v[5:6], v9
	v_cvt_f64_f32_e32 v[9:10], v0
	v_mov_b32_e32 v0, s12
	v_mul_f64 v[5:6], v[5:6], s[14:15]
	v_addc_co_u32_e32 v8, vcc, v8, v0, vcc
	v_mul_f64 v[9:10], v[9:10], s[14:15]
	v_and_or_b32 v0, v6, s16, v5
	v_cmp_ne_u32_e32 vcc, 0, v0
	v_lshrrev_b32_e32 v5, 8, v6
	v_and_or_b32 v9, v10, s16, v9
	v_bfe_u32 v11, v6, 20, 11
	v_cndmask_b32_e64 v0, 0, 1, vcc
	v_cmp_ne_u32_e32 vcc, 0, v9
	v_lshrrev_b32_e32 v12, 8, v10
	v_bfe_u32 v13, v10, 20, 11
	v_sub_u32_e32 v14, 0x3f1, v11
	v_cndmask_b32_e64 v9, 0, 1, vcc
	v_and_or_b32 v0, v5, s10, v0
	v_sub_u32_e32 v15, 0x3f1, v13
	v_med3_i32 v5, v14, 0, 13
	v_and_or_b32 v9, v12, s10, v9
	v_or_b32_e32 v14, 0x1000, v0
	v_add_u32_e32 v11, 0xfffffc10, v11
	v_med3_i32 v12, v15, 0, 13
	v_cmp_ne_u32_e32 vcc, 0, v0
	v_or_b32_e32 v16, 0x1000, v9
	v_lshrrev_b32_e32 v18, v5, v14
	v_add_u32_e32 v13, 0xfffffc10, v13
	v_lshl_or_b32 v15, v11, 12, v0
	v_cndmask_b32_e64 v0, 0, 1, vcc
	v_cmp_ne_u32_e32 vcc, 0, v9
	v_lshrrev_b32_e32 v19, v12, v16
	v_lshlrev_b32_e32 v5, v5, v18
	v_lshl_or_b32 v17, v13, 12, v9
	v_cndmask_b32_e64 v9, 0, 1, vcc
	v_lshlrev_b32_e32 v12, v12, v19
	v_cmp_ne_u32_e32 vcc, v5, v14
	v_cndmask_b32_e64 v5, 0, 1, vcc
	v_cmp_ne_u32_e32 vcc, v12, v16
	v_cndmask_b32_e64 v12, 0, 1, vcc
	v_or_b32_e32 v5, v18, v5
	v_cmp_gt_i32_e32 vcc, 1, v11
	v_cndmask_b32_e32 v5, v15, v5, vcc
	v_or_b32_e32 v12, v19, v12
	v_cmp_gt_i32_e32 vcc, 1, v13
	v_and_b32_e32 v14, 7, v5
	v_cndmask_b32_e32 v12, v17, v12, vcc
	v_cmp_lt_i32_e32 vcc, 5, v14
	v_cmp_eq_u32_e64 s[0:1], 3, v14
	v_lshrrev_b32_e32 v5, 2, v5
	v_and_b32_e32 v15, 7, v12
	s_or_b64 vcc, s[0:1], vcc
	v_cmp_lt_i32_e64 s[2:3], 5, v15
	v_cmp_eq_u32_e64 s[4:5], 3, v15
	v_addc_co_u32_e32 v5, vcc, 0, v5, vcc
	v_lshrrev_b32_e32 v12, 2, v12
	s_or_b64 vcc, s[4:5], s[2:3]
	v_addc_co_u32_e32 v12, vcc, 0, v12, vcc
	v_cmp_gt_i32_e32 vcc, 31, v11
	v_cndmask_b32_e32 v5, v2, v5, vcc
	v_cmp_gt_i32_e32 vcc, 31, v13
	v_lshl_or_b32 v0, v0, 9, v2
	v_cndmask_b32_e32 v12, v2, v12, vcc
	v_cmp_eq_u32_e32 vcc, s18, v11
	v_lshrrev_b32_e32 v6, 16, v6
	v_lshl_or_b32 v9, v9, 9, v2
	v_cndmask_b32_e32 v0, v5, v0, vcc
	v_cmp_eq_u32_e32 vcc, s18, v13
	v_lshrrev_b32_e32 v10, 16, v10
	v_cndmask_b32_e32 v5, v12, v9, vcc
	v_and_or_b32 v0, v6, s17, v0
	v_and_or_b32 v5, v10, s17, v5
	v_and_b32_e32 v0, 0xffff, v0
	v_lshl_or_b32 v0, v5, 16, v0
	global_store_dword v[7:8], v0, off
	global_load_dword v0, v48, s[6:7] offset:832
	v_lshrrev_b32_e32 v5, 16, v1
	v_mov_b32_e32 v9, s12
	v_add_co_u32_e32 v7, vcc, s11, v7
	v_addc_co_u32_e32 v8, vcc, v8, v9, vcc
	s_waitcnt vmcnt(0)
	v_mul_f16_sdwa v6, v5, v0 dst_sel:DWORD dst_unused:UNUSED_PAD src0_sel:DWORD src1_sel:WORD_1
	v_fma_f16 v6, v1, v0, v6
	v_mul_f16_sdwa v1, v1, v0 dst_sel:DWORD dst_unused:UNUSED_PAD src0_sel:DWORD src1_sel:WORD_1
	v_cvt_f32_f16_e32 v6, v6
	v_fma_f16 v0, v0, v5, -v1
	v_cvt_f32_f16_e32 v5, v0
	v_cvt_f64_f32_e32 v[0:1], v6
	v_cvt_f64_f32_e32 v[5:6], v5
	v_mul_f64 v[0:1], v[0:1], s[14:15]
	v_mul_f64 v[5:6], v[5:6], s[14:15]
	v_and_or_b32 v0, v1, s16, v0
	v_cmp_ne_u32_e32 vcc, 0, v0
	v_and_or_b32 v5, v6, s16, v5
	v_lshrrev_b32_e32 v9, 8, v1
	v_bfe_u32 v10, v1, 20, 11
	v_cndmask_b32_e64 v0, 0, 1, vcc
	v_cmp_ne_u32_e32 vcc, 0, v5
	v_lshrrev_b32_e32 v11, 8, v6
	v_bfe_u32 v12, v6, 20, 11
	v_sub_u32_e32 v13, 0x3f1, v10
	v_cndmask_b32_e64 v5, 0, 1, vcc
	v_and_or_b32 v0, v9, s10, v0
	v_sub_u32_e32 v14, 0x3f1, v12
	v_med3_i32 v9, v13, 0, 13
	v_and_or_b32 v5, v11, s10, v5
	v_or_b32_e32 v13, 0x1000, v0
	v_add_u32_e32 v10, 0xfffffc10, v10
	v_med3_i32 v11, v14, 0, 13
	v_cmp_ne_u32_e32 vcc, 0, v0
	v_or_b32_e32 v15, 0x1000, v5
	v_lshrrev_b32_e32 v17, v9, v13
	v_add_u32_e32 v12, 0xfffffc10, v12
	v_lshl_or_b32 v14, v10, 12, v0
	v_cndmask_b32_e64 v0, 0, 1, vcc
	v_cmp_ne_u32_e32 vcc, 0, v5
	v_lshrrev_b32_e32 v18, v11, v15
	v_lshlrev_b32_e32 v9, v9, v17
	v_lshl_or_b32 v16, v12, 12, v5
	v_cndmask_b32_e64 v5, 0, 1, vcc
	v_lshlrev_b32_e32 v11, v11, v18
	v_cmp_ne_u32_e32 vcc, v9, v13
	v_cndmask_b32_e64 v9, 0, 1, vcc
	v_cmp_ne_u32_e32 vcc, v11, v15
	v_cndmask_b32_e64 v11, 0, 1, vcc
	v_or_b32_e32 v9, v17, v9
	v_cmp_gt_i32_e32 vcc, 1, v10
	v_cndmask_b32_e32 v9, v14, v9, vcc
	v_or_b32_e32 v11, v18, v11
	v_cmp_gt_i32_e32 vcc, 1, v12
	v_and_b32_e32 v13, 7, v9
	v_cndmask_b32_e32 v11, v16, v11, vcc
	v_cmp_lt_i32_e32 vcc, 5, v13
	v_cmp_eq_u32_e64 s[0:1], 3, v13
	v_lshrrev_b32_e32 v9, 2, v9
	v_and_b32_e32 v14, 7, v11
	s_or_b64 vcc, s[0:1], vcc
	v_cmp_lt_i32_e64 s[2:3], 5, v14
	v_cmp_eq_u32_e64 s[4:5], 3, v14
	v_addc_co_u32_e32 v9, vcc, 0, v9, vcc
	v_lshrrev_b32_e32 v11, 2, v11
	s_or_b64 vcc, s[4:5], s[2:3]
	v_addc_co_u32_e32 v11, vcc, 0, v11, vcc
	v_cmp_gt_i32_e32 vcc, 31, v10
	v_cndmask_b32_e32 v9, v2, v9, vcc
	v_cmp_gt_i32_e32 vcc, 31, v12
	v_lshl_or_b32 v0, v0, 9, v2
	v_cndmask_b32_e32 v11, v2, v11, vcc
	v_cmp_eq_u32_e32 vcc, s18, v10
	v_lshrrev_b32_e32 v1, 16, v1
	v_lshl_or_b32 v5, v5, 9, v2
	v_cndmask_b32_e32 v0, v9, v0, vcc
	v_cmp_eq_u32_e32 vcc, s18, v12
	v_lshrrev_b32_e32 v6, 16, v6
	v_cndmask_b32_e32 v5, v11, v5, vcc
	v_and_or_b32 v0, v1, s17, v0
	v_and_or_b32 v1, v6, s17, v5
	v_and_b32_e32 v0, 0xffff, v0
	v_lshl_or_b32 v0, v1, 16, v0
	global_store_dword v[7:8], v0, off
	global_load_dword v5, v48, s[6:7] offset:1248
	v_add_u32_e32 v0, 0x400, v48
	ds_read2_b32 v[0:1], v0 offset0:56 offset1:160
	v_add_co_u32_e32 v7, vcc, s11, v7
	s_waitcnt lgkmcnt(0)
	v_lshrrev_b32_e32 v6, 16, v0
	s_waitcnt vmcnt(0)
	v_mul_f16_sdwa v9, v6, v5 dst_sel:DWORD dst_unused:UNUSED_PAD src0_sel:DWORD src1_sel:WORD_1
	v_fma_f16 v9, v0, v5, v9
	v_mul_f16_sdwa v0, v0, v5 dst_sel:DWORD dst_unused:UNUSED_PAD src0_sel:DWORD src1_sel:WORD_1
	v_cvt_f32_f16_e32 v9, v9
	v_fma_f16 v0, v5, v6, -v0
	v_cvt_f32_f16_e32 v0, v0
	v_cvt_f64_f32_e32 v[5:6], v9
	v_cvt_f64_f32_e32 v[9:10], v0
	v_mov_b32_e32 v0, s12
	v_mul_f64 v[5:6], v[5:6], s[14:15]
	v_addc_co_u32_e32 v8, vcc, v8, v0, vcc
	v_mul_f64 v[9:10], v[9:10], s[14:15]
	v_and_or_b32 v0, v6, s16, v5
	v_cmp_ne_u32_e32 vcc, 0, v0
	v_lshrrev_b32_e32 v5, 8, v6
	v_and_or_b32 v9, v10, s16, v9
	v_bfe_u32 v11, v6, 20, 11
	v_cndmask_b32_e64 v0, 0, 1, vcc
	v_cmp_ne_u32_e32 vcc, 0, v9
	v_lshrrev_b32_e32 v12, 8, v10
	v_bfe_u32 v13, v10, 20, 11
	v_sub_u32_e32 v14, 0x3f1, v11
	v_cndmask_b32_e64 v9, 0, 1, vcc
	v_and_or_b32 v0, v5, s10, v0
	v_sub_u32_e32 v15, 0x3f1, v13
	v_med3_i32 v5, v14, 0, 13
	v_and_or_b32 v9, v12, s10, v9
	v_or_b32_e32 v14, 0x1000, v0
	v_add_u32_e32 v11, 0xfffffc10, v11
	v_med3_i32 v12, v15, 0, 13
	v_cmp_ne_u32_e32 vcc, 0, v0
	v_or_b32_e32 v16, 0x1000, v9
	v_lshrrev_b32_e32 v18, v5, v14
	v_add_u32_e32 v13, 0xfffffc10, v13
	v_lshl_or_b32 v15, v11, 12, v0
	v_cndmask_b32_e64 v0, 0, 1, vcc
	v_cmp_ne_u32_e32 vcc, 0, v9
	v_lshrrev_b32_e32 v19, v12, v16
	v_lshlrev_b32_e32 v5, v5, v18
	v_lshl_or_b32 v17, v13, 12, v9
	v_cndmask_b32_e64 v9, 0, 1, vcc
	v_lshlrev_b32_e32 v12, v12, v19
	v_cmp_ne_u32_e32 vcc, v5, v14
	v_cndmask_b32_e64 v5, 0, 1, vcc
	v_cmp_ne_u32_e32 vcc, v12, v16
	v_cndmask_b32_e64 v12, 0, 1, vcc
	v_or_b32_e32 v5, v18, v5
	v_cmp_gt_i32_e32 vcc, 1, v11
	v_cndmask_b32_e32 v5, v15, v5, vcc
	v_or_b32_e32 v12, v19, v12
	v_cmp_gt_i32_e32 vcc, 1, v13
	v_and_b32_e32 v14, 7, v5
	v_cndmask_b32_e32 v12, v17, v12, vcc
	v_cmp_lt_i32_e32 vcc, 5, v14
	v_cmp_eq_u32_e64 s[0:1], 3, v14
	v_lshrrev_b32_e32 v5, 2, v5
	v_and_b32_e32 v15, 7, v12
	s_or_b64 vcc, s[0:1], vcc
	v_cmp_lt_i32_e64 s[2:3], 5, v15
	v_cmp_eq_u32_e64 s[4:5], 3, v15
	v_addc_co_u32_e32 v5, vcc, 0, v5, vcc
	v_lshrrev_b32_e32 v12, 2, v12
	s_or_b64 vcc, s[4:5], s[2:3]
	v_addc_co_u32_e32 v12, vcc, 0, v12, vcc
	v_cmp_gt_i32_e32 vcc, 31, v11
	v_cndmask_b32_e32 v5, v2, v5, vcc
	v_cmp_gt_i32_e32 vcc, 31, v13
	v_lshl_or_b32 v0, v0, 9, v2
	v_cndmask_b32_e32 v12, v2, v12, vcc
	v_cmp_eq_u32_e32 vcc, s18, v11
	v_lshrrev_b32_e32 v6, 16, v6
	v_lshl_or_b32 v9, v9, 9, v2
	v_cndmask_b32_e32 v0, v5, v0, vcc
	v_cmp_eq_u32_e32 vcc, s18, v13
	v_lshrrev_b32_e32 v10, 16, v10
	v_cndmask_b32_e32 v5, v12, v9, vcc
	v_and_or_b32 v0, v6, s17, v0
	v_and_or_b32 v5, v10, s17, v5
	v_and_b32_e32 v0, 0xffff, v0
	v_lshl_or_b32 v0, v5, 16, v0
	global_store_dword v[7:8], v0, off
	global_load_dword v0, v48, s[6:7] offset:1664
	v_lshrrev_b32_e32 v5, 16, v1
	v_mov_b32_e32 v9, s12
	v_add_co_u32_e32 v7, vcc, s11, v7
	v_addc_co_u32_e32 v8, vcc, v8, v9, vcc
	s_waitcnt vmcnt(0)
	v_mul_f16_sdwa v6, v5, v0 dst_sel:DWORD dst_unused:UNUSED_PAD src0_sel:DWORD src1_sel:WORD_1
	v_fma_f16 v6, v1, v0, v6
	v_mul_f16_sdwa v1, v1, v0 dst_sel:DWORD dst_unused:UNUSED_PAD src0_sel:DWORD src1_sel:WORD_1
	v_cvt_f32_f16_e32 v6, v6
	v_fma_f16 v0, v0, v5, -v1
	v_cvt_f32_f16_e32 v5, v0
	v_cvt_f64_f32_e32 v[0:1], v6
	v_cvt_f64_f32_e32 v[5:6], v5
	v_mul_f64 v[0:1], v[0:1], s[14:15]
	v_mul_f64 v[5:6], v[5:6], s[14:15]
	v_and_or_b32 v0, v1, s16, v0
	v_cmp_ne_u32_e32 vcc, 0, v0
	v_and_or_b32 v5, v6, s16, v5
	v_lshrrev_b32_e32 v9, 8, v1
	v_bfe_u32 v10, v1, 20, 11
	v_cndmask_b32_e64 v0, 0, 1, vcc
	v_cmp_ne_u32_e32 vcc, 0, v5
	v_lshrrev_b32_e32 v11, 8, v6
	v_bfe_u32 v12, v6, 20, 11
	v_sub_u32_e32 v13, 0x3f1, v10
	v_cndmask_b32_e64 v5, 0, 1, vcc
	v_and_or_b32 v0, v9, s10, v0
	v_sub_u32_e32 v14, 0x3f1, v12
	v_med3_i32 v9, v13, 0, 13
	v_and_or_b32 v5, v11, s10, v5
	v_or_b32_e32 v13, 0x1000, v0
	v_add_u32_e32 v10, 0xfffffc10, v10
	v_med3_i32 v11, v14, 0, 13
	v_cmp_ne_u32_e32 vcc, 0, v0
	v_or_b32_e32 v15, 0x1000, v5
	v_lshrrev_b32_e32 v17, v9, v13
	v_add_u32_e32 v12, 0xfffffc10, v12
	v_lshl_or_b32 v14, v10, 12, v0
	v_cndmask_b32_e64 v0, 0, 1, vcc
	v_cmp_ne_u32_e32 vcc, 0, v5
	v_lshrrev_b32_e32 v18, v11, v15
	v_lshlrev_b32_e32 v9, v9, v17
	v_lshl_or_b32 v16, v12, 12, v5
	v_cndmask_b32_e64 v5, 0, 1, vcc
	v_lshlrev_b32_e32 v11, v11, v18
	v_cmp_ne_u32_e32 vcc, v9, v13
	v_cndmask_b32_e64 v9, 0, 1, vcc
	v_cmp_ne_u32_e32 vcc, v11, v15
	v_cndmask_b32_e64 v11, 0, 1, vcc
	v_or_b32_e32 v9, v17, v9
	v_cmp_gt_i32_e32 vcc, 1, v10
	v_cndmask_b32_e32 v9, v14, v9, vcc
	v_or_b32_e32 v11, v18, v11
	v_cmp_gt_i32_e32 vcc, 1, v12
	v_and_b32_e32 v13, 7, v9
	v_cndmask_b32_e32 v11, v16, v11, vcc
	v_cmp_lt_i32_e32 vcc, 5, v13
	v_cmp_eq_u32_e64 s[0:1], 3, v13
	v_lshrrev_b32_e32 v9, 2, v9
	v_and_b32_e32 v14, 7, v11
	s_or_b64 vcc, s[0:1], vcc
	v_cmp_lt_i32_e64 s[2:3], 5, v14
	v_cmp_eq_u32_e64 s[4:5], 3, v14
	v_addc_co_u32_e32 v9, vcc, 0, v9, vcc
	v_lshrrev_b32_e32 v11, 2, v11
	s_or_b64 vcc, s[4:5], s[2:3]
	v_addc_co_u32_e32 v11, vcc, 0, v11, vcc
	v_cmp_gt_i32_e32 vcc, 31, v10
	v_cndmask_b32_e32 v9, v2, v9, vcc
	v_cmp_gt_i32_e32 vcc, 31, v12
	v_lshl_or_b32 v0, v0, 9, v2
	v_cndmask_b32_e32 v11, v2, v11, vcc
	v_cmp_eq_u32_e32 vcc, s18, v10
	v_lshrrev_b32_e32 v1, 16, v1
	v_lshl_or_b32 v5, v5, 9, v2
	v_cndmask_b32_e32 v0, v9, v0, vcc
	v_cmp_eq_u32_e32 vcc, s18, v12
	v_lshrrev_b32_e32 v6, 16, v6
	v_cndmask_b32_e32 v5, v11, v5, vcc
	v_and_or_b32 v0, v1, s17, v0
	v_and_or_b32 v1, v6, s17, v5
	v_and_b32_e32 v0, 0xffff, v0
	v_lshl_or_b32 v0, v1, 16, v0
	global_store_dword v[7:8], v0, off
	global_load_dword v5, v48, s[6:7] offset:2080
	v_add_u32_e32 v0, 0x800, v48
	ds_read2_b32 v[0:1], v0 offset0:8 offset1:112
	v_add_co_u32_e32 v7, vcc, s11, v7
	s_waitcnt lgkmcnt(0)
	v_lshrrev_b32_e32 v6, 16, v0
	s_waitcnt vmcnt(0)
	v_mul_f16_sdwa v9, v6, v5 dst_sel:DWORD dst_unused:UNUSED_PAD src0_sel:DWORD src1_sel:WORD_1
	v_fma_f16 v9, v0, v5, v9
	v_mul_f16_sdwa v0, v0, v5 dst_sel:DWORD dst_unused:UNUSED_PAD src0_sel:DWORD src1_sel:WORD_1
	v_cvt_f32_f16_e32 v9, v9
	v_fma_f16 v0, v5, v6, -v0
	v_cvt_f32_f16_e32 v0, v0
	v_cvt_f64_f32_e32 v[5:6], v9
	v_cvt_f64_f32_e32 v[9:10], v0
	v_mov_b32_e32 v0, s12
	v_mul_f64 v[5:6], v[5:6], s[14:15]
	v_addc_co_u32_e32 v8, vcc, v8, v0, vcc
	v_mul_f64 v[9:10], v[9:10], s[14:15]
	v_and_or_b32 v0, v6, s16, v5
	v_cmp_ne_u32_e32 vcc, 0, v0
	v_lshrrev_b32_e32 v5, 8, v6
	v_and_or_b32 v9, v10, s16, v9
	v_bfe_u32 v11, v6, 20, 11
	v_cndmask_b32_e64 v0, 0, 1, vcc
	v_cmp_ne_u32_e32 vcc, 0, v9
	v_lshrrev_b32_e32 v12, 8, v10
	v_bfe_u32 v13, v10, 20, 11
	v_sub_u32_e32 v14, 0x3f1, v11
	v_cndmask_b32_e64 v9, 0, 1, vcc
	v_and_or_b32 v0, v5, s10, v0
	v_sub_u32_e32 v15, 0x3f1, v13
	v_med3_i32 v5, v14, 0, 13
	v_and_or_b32 v9, v12, s10, v9
	v_or_b32_e32 v14, 0x1000, v0
	v_add_u32_e32 v11, 0xfffffc10, v11
	v_med3_i32 v12, v15, 0, 13
	v_cmp_ne_u32_e32 vcc, 0, v0
	v_or_b32_e32 v16, 0x1000, v9
	v_lshrrev_b32_e32 v18, v5, v14
	v_add_u32_e32 v13, 0xfffffc10, v13
	v_lshl_or_b32 v15, v11, 12, v0
	v_cndmask_b32_e64 v0, 0, 1, vcc
	v_cmp_ne_u32_e32 vcc, 0, v9
	v_lshrrev_b32_e32 v19, v12, v16
	v_lshlrev_b32_e32 v5, v5, v18
	v_lshl_or_b32 v17, v13, 12, v9
	v_cndmask_b32_e64 v9, 0, 1, vcc
	v_lshlrev_b32_e32 v12, v12, v19
	v_cmp_ne_u32_e32 vcc, v5, v14
	v_cndmask_b32_e64 v5, 0, 1, vcc
	v_cmp_ne_u32_e32 vcc, v12, v16
	v_cndmask_b32_e64 v12, 0, 1, vcc
	v_or_b32_e32 v5, v18, v5
	v_cmp_gt_i32_e32 vcc, 1, v11
	v_cndmask_b32_e32 v5, v15, v5, vcc
	v_or_b32_e32 v12, v19, v12
	v_cmp_gt_i32_e32 vcc, 1, v13
	v_and_b32_e32 v14, 7, v5
	v_cndmask_b32_e32 v12, v17, v12, vcc
	v_cmp_lt_i32_e32 vcc, 5, v14
	v_cmp_eq_u32_e64 s[0:1], 3, v14
	v_lshrrev_b32_e32 v5, 2, v5
	v_and_b32_e32 v15, 7, v12
	s_or_b64 vcc, s[0:1], vcc
	v_cmp_lt_i32_e64 s[2:3], 5, v15
	v_cmp_eq_u32_e64 s[4:5], 3, v15
	v_addc_co_u32_e32 v5, vcc, 0, v5, vcc
	v_lshrrev_b32_e32 v12, 2, v12
	s_or_b64 vcc, s[4:5], s[2:3]
	v_addc_co_u32_e32 v12, vcc, 0, v12, vcc
	v_cmp_gt_i32_e32 vcc, 31, v11
	v_cndmask_b32_e32 v5, v2, v5, vcc
	v_cmp_gt_i32_e32 vcc, 31, v13
	v_lshl_or_b32 v0, v0, 9, v2
	v_cndmask_b32_e32 v12, v2, v12, vcc
	v_cmp_eq_u32_e32 vcc, s18, v11
	v_lshrrev_b32_e32 v6, 16, v6
	v_lshl_or_b32 v9, v9, 9, v2
	v_cndmask_b32_e32 v0, v5, v0, vcc
	v_cmp_eq_u32_e32 vcc, s18, v13
	v_lshrrev_b32_e32 v10, 16, v10
	v_cndmask_b32_e32 v5, v12, v9, vcc
	v_and_or_b32 v0, v6, s17, v0
	v_and_or_b32 v5, v10, s17, v5
	v_and_b32_e32 v0, 0xffff, v0
	v_lshl_or_b32 v0, v5, 16, v0
	global_store_dword v[7:8], v0, off
	global_load_dword v0, v48, s[6:7] offset:2496
	v_lshrrev_b32_e32 v5, 16, v1
	v_mov_b32_e32 v9, s12
	v_add_co_u32_e32 v7, vcc, s11, v7
	v_addc_co_u32_e32 v8, vcc, v8, v9, vcc
	s_waitcnt vmcnt(0)
	v_mul_f16_sdwa v6, v5, v0 dst_sel:DWORD dst_unused:UNUSED_PAD src0_sel:DWORD src1_sel:WORD_1
	v_fma_f16 v6, v1, v0, v6
	v_mul_f16_sdwa v1, v1, v0 dst_sel:DWORD dst_unused:UNUSED_PAD src0_sel:DWORD src1_sel:WORD_1
	v_cvt_f32_f16_e32 v6, v6
	v_fma_f16 v0, v0, v5, -v1
	v_cvt_f32_f16_e32 v5, v0
	v_cvt_f64_f32_e32 v[0:1], v6
	v_cvt_f64_f32_e32 v[5:6], v5
	v_mul_f64 v[0:1], v[0:1], s[14:15]
	v_mul_f64 v[5:6], v[5:6], s[14:15]
	v_and_or_b32 v0, v1, s16, v0
	v_cmp_ne_u32_e32 vcc, 0, v0
	v_and_or_b32 v5, v6, s16, v5
	v_lshrrev_b32_e32 v9, 8, v1
	v_bfe_u32 v10, v1, 20, 11
	v_cndmask_b32_e64 v0, 0, 1, vcc
	v_cmp_ne_u32_e32 vcc, 0, v5
	v_lshrrev_b32_e32 v11, 8, v6
	v_bfe_u32 v12, v6, 20, 11
	v_sub_u32_e32 v13, 0x3f1, v10
	v_cndmask_b32_e64 v5, 0, 1, vcc
	v_and_or_b32 v0, v9, s10, v0
	v_sub_u32_e32 v14, 0x3f1, v12
	v_med3_i32 v9, v13, 0, 13
	v_and_or_b32 v5, v11, s10, v5
	v_or_b32_e32 v13, 0x1000, v0
	v_add_u32_e32 v10, 0xfffffc10, v10
	v_med3_i32 v11, v14, 0, 13
	v_cmp_ne_u32_e32 vcc, 0, v0
	v_or_b32_e32 v15, 0x1000, v5
	v_lshrrev_b32_e32 v17, v9, v13
	v_add_u32_e32 v12, 0xfffffc10, v12
	v_lshl_or_b32 v14, v10, 12, v0
	v_cndmask_b32_e64 v0, 0, 1, vcc
	v_cmp_ne_u32_e32 vcc, 0, v5
	v_lshrrev_b32_e32 v18, v11, v15
	v_lshlrev_b32_e32 v9, v9, v17
	v_lshl_or_b32 v16, v12, 12, v5
	v_cndmask_b32_e64 v5, 0, 1, vcc
	v_lshlrev_b32_e32 v11, v11, v18
	v_cmp_ne_u32_e32 vcc, v9, v13
	v_cndmask_b32_e64 v9, 0, 1, vcc
	v_cmp_ne_u32_e32 vcc, v11, v15
	v_cndmask_b32_e64 v11, 0, 1, vcc
	v_or_b32_e32 v9, v17, v9
	v_cmp_gt_i32_e32 vcc, 1, v10
	v_cndmask_b32_e32 v9, v14, v9, vcc
	v_or_b32_e32 v11, v18, v11
	v_cmp_gt_i32_e32 vcc, 1, v12
	v_and_b32_e32 v13, 7, v9
	v_cndmask_b32_e32 v11, v16, v11, vcc
	v_cmp_lt_i32_e32 vcc, 5, v13
	v_cmp_eq_u32_e64 s[0:1], 3, v13
	v_lshrrev_b32_e32 v9, 2, v9
	v_and_b32_e32 v14, 7, v11
	s_or_b64 vcc, s[0:1], vcc
	v_cmp_lt_i32_e64 s[2:3], 5, v14
	v_cmp_eq_u32_e64 s[4:5], 3, v14
	v_addc_co_u32_e32 v9, vcc, 0, v9, vcc
	v_lshrrev_b32_e32 v11, 2, v11
	s_or_b64 vcc, s[4:5], s[2:3]
	v_addc_co_u32_e32 v11, vcc, 0, v11, vcc
	v_cmp_gt_i32_e32 vcc, 31, v10
	v_cndmask_b32_e32 v9, v2, v9, vcc
	v_cmp_gt_i32_e32 vcc, 31, v12
	v_lshl_or_b32 v0, v0, 9, v2
	v_cndmask_b32_e32 v11, v2, v11, vcc
	v_cmp_eq_u32_e32 vcc, s18, v10
	v_lshrrev_b32_e32 v1, 16, v1
	v_lshl_or_b32 v5, v5, 9, v2
	v_cndmask_b32_e32 v0, v9, v0, vcc
	v_cmp_eq_u32_e32 vcc, s18, v12
	v_lshrrev_b32_e32 v6, 16, v6
	v_cndmask_b32_e32 v5, v11, v5, vcc
	v_and_or_b32 v0, v1, s17, v0
	v_and_or_b32 v1, v6, s17, v5
	v_and_b32_e32 v0, 0xffff, v0
	v_lshl_or_b32 v0, v1, 16, v0
	global_store_dword v[7:8], v0, off
	global_load_dword v5, v48, s[6:7] offset:2912
	v_add_u32_e32 v0, 0xa00, v48
	ds_read2_b32 v[0:1], v0 offset0:88 offset1:192
	v_add_co_u32_e32 v7, vcc, s11, v7
	s_waitcnt lgkmcnt(0)
	v_lshrrev_b32_e32 v6, 16, v0
	s_waitcnt vmcnt(0)
	v_mul_f16_sdwa v9, v6, v5 dst_sel:DWORD dst_unused:UNUSED_PAD src0_sel:DWORD src1_sel:WORD_1
	v_fma_f16 v9, v0, v5, v9
	v_mul_f16_sdwa v0, v0, v5 dst_sel:DWORD dst_unused:UNUSED_PAD src0_sel:DWORD src1_sel:WORD_1
	v_cvt_f32_f16_e32 v9, v9
	v_fma_f16 v0, v5, v6, -v0
	v_cvt_f32_f16_e32 v0, v0
	v_cvt_f64_f32_e32 v[5:6], v9
	v_cvt_f64_f32_e32 v[9:10], v0
	v_mov_b32_e32 v0, s12
	v_mul_f64 v[5:6], v[5:6], s[14:15]
	v_addc_co_u32_e32 v8, vcc, v8, v0, vcc
	v_mul_f64 v[9:10], v[9:10], s[14:15]
	v_and_or_b32 v0, v6, s16, v5
	v_cmp_ne_u32_e32 vcc, 0, v0
	v_lshrrev_b32_e32 v5, 8, v6
	v_and_or_b32 v9, v10, s16, v9
	v_bfe_u32 v11, v6, 20, 11
	v_cndmask_b32_e64 v0, 0, 1, vcc
	v_cmp_ne_u32_e32 vcc, 0, v9
	v_lshrrev_b32_e32 v12, 8, v10
	v_bfe_u32 v13, v10, 20, 11
	v_sub_u32_e32 v14, 0x3f1, v11
	v_cndmask_b32_e64 v9, 0, 1, vcc
	v_and_or_b32 v0, v5, s10, v0
	v_sub_u32_e32 v15, 0x3f1, v13
	v_med3_i32 v5, v14, 0, 13
	v_and_or_b32 v9, v12, s10, v9
	v_or_b32_e32 v14, 0x1000, v0
	v_add_u32_e32 v11, 0xfffffc10, v11
	v_med3_i32 v12, v15, 0, 13
	v_cmp_ne_u32_e32 vcc, 0, v0
	v_or_b32_e32 v16, 0x1000, v9
	v_lshrrev_b32_e32 v18, v5, v14
	v_add_u32_e32 v13, 0xfffffc10, v13
	v_lshl_or_b32 v15, v11, 12, v0
	v_cndmask_b32_e64 v0, 0, 1, vcc
	v_cmp_ne_u32_e32 vcc, 0, v9
	v_lshrrev_b32_e32 v19, v12, v16
	v_lshlrev_b32_e32 v5, v5, v18
	v_lshl_or_b32 v17, v13, 12, v9
	v_cndmask_b32_e64 v9, 0, 1, vcc
	v_lshlrev_b32_e32 v12, v12, v19
	v_cmp_ne_u32_e32 vcc, v5, v14
	v_cndmask_b32_e64 v5, 0, 1, vcc
	v_cmp_ne_u32_e32 vcc, v12, v16
	v_cndmask_b32_e64 v12, 0, 1, vcc
	v_or_b32_e32 v5, v18, v5
	v_cmp_gt_i32_e32 vcc, 1, v11
	v_cndmask_b32_e32 v5, v15, v5, vcc
	v_or_b32_e32 v12, v19, v12
	v_cmp_gt_i32_e32 vcc, 1, v13
	v_and_b32_e32 v14, 7, v5
	v_cndmask_b32_e32 v12, v17, v12, vcc
	v_cmp_lt_i32_e32 vcc, 5, v14
	v_cmp_eq_u32_e64 s[0:1], 3, v14
	v_lshrrev_b32_e32 v5, 2, v5
	v_and_b32_e32 v15, 7, v12
	s_or_b64 vcc, s[0:1], vcc
	v_cmp_lt_i32_e64 s[2:3], 5, v15
	v_cmp_eq_u32_e64 s[4:5], 3, v15
	v_addc_co_u32_e32 v5, vcc, 0, v5, vcc
	v_lshrrev_b32_e32 v12, 2, v12
	s_or_b64 vcc, s[4:5], s[2:3]
	v_addc_co_u32_e32 v12, vcc, 0, v12, vcc
	v_cmp_gt_i32_e32 vcc, 31, v11
	v_cndmask_b32_e32 v5, v2, v5, vcc
	v_cmp_gt_i32_e32 vcc, 31, v13
	v_lshl_or_b32 v0, v0, 9, v2
	v_cndmask_b32_e32 v12, v2, v12, vcc
	v_cmp_eq_u32_e32 vcc, s18, v11
	v_lshrrev_b32_e32 v6, 16, v6
	v_lshl_or_b32 v9, v9, 9, v2
	v_cndmask_b32_e32 v0, v5, v0, vcc
	v_cmp_eq_u32_e32 vcc, s18, v13
	v_lshrrev_b32_e32 v10, 16, v10
	v_cndmask_b32_e32 v5, v12, v9, vcc
	v_and_or_b32 v0, v6, s17, v0
	v_and_or_b32 v5, v10, s17, v5
	v_and_b32_e32 v0, 0xffff, v0
	v_lshl_or_b32 v0, v5, 16, v0
	global_store_dword v[7:8], v0, off
	global_load_dword v0, v48, s[6:7] offset:3328
	v_lshrrev_b32_e32 v5, 16, v1
	v_mov_b32_e32 v9, s12
	v_add_co_u32_e32 v7, vcc, s11, v7
	v_addc_co_u32_e32 v8, vcc, v8, v9, vcc
	s_waitcnt vmcnt(0)
	v_mul_f16_sdwa v6, v5, v0 dst_sel:DWORD dst_unused:UNUSED_PAD src0_sel:DWORD src1_sel:WORD_1
	v_fma_f16 v6, v1, v0, v6
	v_mul_f16_sdwa v1, v1, v0 dst_sel:DWORD dst_unused:UNUSED_PAD src0_sel:DWORD src1_sel:WORD_1
	v_cvt_f32_f16_e32 v6, v6
	v_fma_f16 v0, v0, v5, -v1
	v_cvt_f32_f16_e32 v5, v0
	v_cvt_f64_f32_e32 v[0:1], v6
	v_cvt_f64_f32_e32 v[5:6], v5
	v_mul_f64 v[0:1], v[0:1], s[14:15]
	v_mul_f64 v[5:6], v[5:6], s[14:15]
	v_and_or_b32 v0, v1, s16, v0
	v_cmp_ne_u32_e32 vcc, 0, v0
	v_and_or_b32 v5, v6, s16, v5
	v_lshrrev_b32_e32 v9, 8, v1
	v_bfe_u32 v10, v1, 20, 11
	v_cndmask_b32_e64 v0, 0, 1, vcc
	v_cmp_ne_u32_e32 vcc, 0, v5
	v_lshrrev_b32_e32 v11, 8, v6
	v_bfe_u32 v12, v6, 20, 11
	v_sub_u32_e32 v13, 0x3f1, v10
	v_cndmask_b32_e64 v5, 0, 1, vcc
	v_and_or_b32 v0, v9, s10, v0
	v_sub_u32_e32 v14, 0x3f1, v12
	v_med3_i32 v9, v13, 0, 13
	v_and_or_b32 v5, v11, s10, v5
	v_or_b32_e32 v13, 0x1000, v0
	v_add_u32_e32 v10, 0xfffffc10, v10
	v_med3_i32 v11, v14, 0, 13
	v_cmp_ne_u32_e32 vcc, 0, v0
	v_or_b32_e32 v15, 0x1000, v5
	v_lshrrev_b32_e32 v17, v9, v13
	v_add_u32_e32 v12, 0xfffffc10, v12
	v_lshl_or_b32 v14, v10, 12, v0
	v_cndmask_b32_e64 v0, 0, 1, vcc
	v_cmp_ne_u32_e32 vcc, 0, v5
	v_lshrrev_b32_e32 v18, v11, v15
	v_lshlrev_b32_e32 v9, v9, v17
	v_lshl_or_b32 v16, v12, 12, v5
	v_cndmask_b32_e64 v5, 0, 1, vcc
	v_lshlrev_b32_e32 v11, v11, v18
	v_cmp_ne_u32_e32 vcc, v9, v13
	v_cndmask_b32_e64 v9, 0, 1, vcc
	v_cmp_ne_u32_e32 vcc, v11, v15
	v_cndmask_b32_e64 v11, 0, 1, vcc
	v_or_b32_e32 v9, v17, v9
	v_cmp_gt_i32_e32 vcc, 1, v10
	v_cndmask_b32_e32 v9, v14, v9, vcc
	v_or_b32_e32 v11, v18, v11
	v_cmp_gt_i32_e32 vcc, 1, v12
	v_and_b32_e32 v13, 7, v9
	v_cndmask_b32_e32 v11, v16, v11, vcc
	v_cmp_lt_i32_e32 vcc, 5, v13
	v_cmp_eq_u32_e64 s[0:1], 3, v13
	v_lshrrev_b32_e32 v9, 2, v9
	v_and_b32_e32 v14, 7, v11
	s_or_b64 vcc, s[0:1], vcc
	v_cmp_lt_i32_e64 s[2:3], 5, v14
	v_cmp_eq_u32_e64 s[4:5], 3, v14
	v_addc_co_u32_e32 v9, vcc, 0, v9, vcc
	v_lshrrev_b32_e32 v11, 2, v11
	s_or_b64 vcc, s[4:5], s[2:3]
	v_addc_co_u32_e32 v11, vcc, 0, v11, vcc
	v_cmp_gt_i32_e32 vcc, 31, v10
	v_cndmask_b32_e32 v9, v2, v9, vcc
	v_cmp_gt_i32_e32 vcc, 31, v12
	v_lshl_or_b32 v0, v0, 9, v2
	v_cndmask_b32_e32 v11, v2, v11, vcc
	v_cmp_eq_u32_e32 vcc, s18, v10
	v_lshrrev_b32_e32 v1, 16, v1
	v_lshl_or_b32 v5, v5, 9, v2
	v_cndmask_b32_e32 v0, v9, v0, vcc
	v_cmp_eq_u32_e32 vcc, s18, v12
	v_lshrrev_b32_e32 v6, 16, v6
	v_cndmask_b32_e32 v5, v11, v5, vcc
	v_and_or_b32 v0, v1, s17, v0
	v_and_or_b32 v1, v6, s17, v5
	v_and_b32_e32 v0, 0xffff, v0
	v_lshl_or_b32 v0, v1, 16, v0
	global_store_dword v[7:8], v0, off
	global_load_dword v0, v48, s[6:7] offset:3744
	v_add_u32_e32 v1, 0xe00, v48
	ds_read2_b32 v[5:6], v1 offset0:40 offset1:144
	v_mov_b32_e32 v9, s7
	v_add_co_u32_e32 v13, vcc, s6, v48
	v_addc_co_u32_e32 v14, vcc, 0, v9, vcc
	s_waitcnt lgkmcnt(0)
	v_lshrrev_b32_e32 v1, 16, v5
	s_movk_i32 s0, 0x1000
	v_mov_b32_e32 v15, s12
	s_waitcnt vmcnt(0)
	v_mul_f16_sdwa v10, v1, v0 dst_sel:DWORD dst_unused:UNUSED_PAD src0_sel:DWORD src1_sel:WORD_1
	v_fma_f16 v10, v5, v0, v10
	v_mul_f16_sdwa v5, v5, v0 dst_sel:DWORD dst_unused:UNUSED_PAD src0_sel:DWORD src1_sel:WORD_1
	v_cvt_f32_f16_e32 v10, v10
	v_fma_f16 v0, v0, v1, -v5
	v_cvt_f32_f16_e32 v5, v0
	v_cvt_f64_f32_e32 v[0:1], v10
	v_cvt_f64_f32_e32 v[9:10], v5
	v_mul_f64 v[11:12], v[0:1], s[14:15]
	v_add_co_u32_e32 v0, vcc, s0, v13
	v_mul_f64 v[9:10], v[9:10], s[14:15]
	v_addc_co_u32_e32 v1, vcc, 0, v14, vcc
	v_add_co_u32_e32 v7, vcc, s11, v7
	v_addc_co_u32_e32 v8, vcc, v8, v15, vcc
	v_and_or_b32 v5, v12, s16, v11
	v_and_or_b32 v9, v10, s16, v9
	v_cmp_ne_u32_e32 vcc, 0, v5
	v_lshrrev_b32_e32 v11, 8, v12
	v_bfe_u32 v13, v12, 20, 11
	v_cndmask_b32_e64 v5, 0, 1, vcc
	v_cmp_ne_u32_e32 vcc, 0, v9
	v_lshrrev_b32_e32 v14, 8, v10
	v_bfe_u32 v15, v10, 20, 11
	v_sub_u32_e32 v16, 0x3f1, v13
	v_cndmask_b32_e64 v9, 0, 1, vcc
	v_and_or_b32 v5, v11, s10, v5
	v_sub_u32_e32 v17, 0x3f1, v15
	v_med3_i32 v11, v16, 0, 13
	v_and_or_b32 v9, v14, s10, v9
	v_or_b32_e32 v16, 0x1000, v5
	v_add_u32_e32 v13, 0xfffffc10, v13
	v_med3_i32 v14, v17, 0, 13
	v_cmp_ne_u32_e32 vcc, 0, v5
	v_or_b32_e32 v18, 0x1000, v9
	v_lshrrev_b32_e32 v20, v11, v16
	v_add_u32_e32 v15, 0xfffffc10, v15
	v_lshl_or_b32 v17, v13, 12, v5
	v_cndmask_b32_e64 v5, 0, 1, vcc
	v_cmp_ne_u32_e32 vcc, 0, v9
	v_lshrrev_b32_e32 v21, v14, v18
	v_lshlrev_b32_e32 v11, v11, v20
	v_lshl_or_b32 v19, v15, 12, v9
	v_cndmask_b32_e64 v9, 0, 1, vcc
	v_lshlrev_b32_e32 v14, v14, v21
	v_cmp_ne_u32_e32 vcc, v11, v16
	v_cndmask_b32_e64 v11, 0, 1, vcc
	v_cmp_ne_u32_e32 vcc, v14, v18
	v_cndmask_b32_e64 v14, 0, 1, vcc
	v_or_b32_e32 v11, v20, v11
	v_cmp_gt_i32_e32 vcc, 1, v13
	v_cndmask_b32_e32 v11, v17, v11, vcc
	v_or_b32_e32 v14, v21, v14
	v_cmp_gt_i32_e32 vcc, 1, v15
	v_and_b32_e32 v16, 7, v11
	v_cndmask_b32_e32 v14, v19, v14, vcc
	v_cmp_lt_i32_e32 vcc, 5, v16
	v_cmp_eq_u32_e64 s[0:1], 3, v16
	v_lshrrev_b32_e32 v11, 2, v11
	v_and_b32_e32 v17, 7, v14
	s_or_b64 vcc, s[0:1], vcc
	v_cmp_lt_i32_e64 s[2:3], 5, v17
	v_cmp_eq_u32_e64 s[4:5], 3, v17
	v_addc_co_u32_e32 v11, vcc, 0, v11, vcc
	v_lshrrev_b32_e32 v14, 2, v14
	s_or_b64 vcc, s[4:5], s[2:3]
	v_addc_co_u32_e32 v14, vcc, 0, v14, vcc
	v_cmp_gt_i32_e32 vcc, 31, v13
	v_cndmask_b32_e32 v11, v2, v11, vcc
	v_cmp_gt_i32_e32 vcc, 31, v15
	v_lshl_or_b32 v5, v5, 9, v2
	v_cndmask_b32_e32 v14, v2, v14, vcc
	v_cmp_eq_u32_e32 vcc, s18, v13
	v_lshrrev_b32_e32 v12, 16, v12
	v_lshl_or_b32 v9, v9, 9, v2
	v_cndmask_b32_e32 v5, v11, v5, vcc
	v_cmp_eq_u32_e32 vcc, s18, v15
	v_lshrrev_b32_e32 v10, 16, v10
	v_cndmask_b32_e32 v9, v14, v9, vcc
	v_and_or_b32 v5, v12, s17, v5
	v_and_or_b32 v9, v10, s17, v9
	v_and_b32_e32 v5, 0xffff, v5
	v_lshl_or_b32 v5, v9, 16, v5
	global_store_dword v[7:8], v5, off
	global_load_dword v5, v[0:1], off offset:64
	v_lshrrev_b32_e32 v9, 16, v6
	v_mov_b32_e32 v11, s12
	v_add_co_u32_e32 v7, vcc, s11, v7
	v_addc_co_u32_e32 v8, vcc, v8, v11, vcc
	s_waitcnt vmcnt(0)
	v_mul_f16_sdwa v10, v9, v5 dst_sel:DWORD dst_unused:UNUSED_PAD src0_sel:DWORD src1_sel:WORD_1
	v_fma_f16 v10, v6, v5, v10
	v_mul_f16_sdwa v6, v6, v5 dst_sel:DWORD dst_unused:UNUSED_PAD src0_sel:DWORD src1_sel:WORD_1
	v_cvt_f32_f16_e32 v10, v10
	v_fma_f16 v5, v5, v9, -v6
	v_cvt_f32_f16_e32 v9, v5
	v_cvt_f64_f32_e32 v[5:6], v10
	v_cvt_f64_f32_e32 v[9:10], v9
	v_mul_f64 v[5:6], v[5:6], s[14:15]
	v_mul_f64 v[9:10], v[9:10], s[14:15]
	v_and_or_b32 v5, v6, s16, v5
	v_cmp_ne_u32_e32 vcc, 0, v5
	v_and_or_b32 v9, v10, s16, v9
	v_lshrrev_b32_e32 v11, 8, v6
	v_bfe_u32 v12, v6, 20, 11
	v_cndmask_b32_e64 v5, 0, 1, vcc
	v_cmp_ne_u32_e32 vcc, 0, v9
	v_lshrrev_b32_e32 v13, 8, v10
	v_bfe_u32 v14, v10, 20, 11
	v_sub_u32_e32 v15, 0x3f1, v12
	v_cndmask_b32_e64 v9, 0, 1, vcc
	v_and_or_b32 v5, v11, s10, v5
	v_sub_u32_e32 v16, 0x3f1, v14
	v_med3_i32 v11, v15, 0, 13
	v_and_or_b32 v9, v13, s10, v9
	v_or_b32_e32 v15, 0x1000, v5
	v_add_u32_e32 v12, 0xfffffc10, v12
	v_med3_i32 v13, v16, 0, 13
	v_cmp_ne_u32_e32 vcc, 0, v5
	v_or_b32_e32 v17, 0x1000, v9
	v_lshrrev_b32_e32 v19, v11, v15
	v_add_u32_e32 v14, 0xfffffc10, v14
	v_lshl_or_b32 v16, v12, 12, v5
	v_cndmask_b32_e64 v5, 0, 1, vcc
	v_cmp_ne_u32_e32 vcc, 0, v9
	v_lshrrev_b32_e32 v20, v13, v17
	v_lshlrev_b32_e32 v11, v11, v19
	v_lshl_or_b32 v18, v14, 12, v9
	v_cndmask_b32_e64 v9, 0, 1, vcc
	v_lshlrev_b32_e32 v13, v13, v20
	v_cmp_ne_u32_e32 vcc, v11, v15
	v_cndmask_b32_e64 v11, 0, 1, vcc
	v_cmp_ne_u32_e32 vcc, v13, v17
	v_cndmask_b32_e64 v13, 0, 1, vcc
	v_or_b32_e32 v11, v19, v11
	v_cmp_gt_i32_e32 vcc, 1, v12
	v_cndmask_b32_e32 v11, v16, v11, vcc
	v_or_b32_e32 v13, v20, v13
	v_cmp_gt_i32_e32 vcc, 1, v14
	v_and_b32_e32 v15, 7, v11
	v_cndmask_b32_e32 v13, v18, v13, vcc
	v_cmp_lt_i32_e32 vcc, 5, v15
	v_cmp_eq_u32_e64 s[0:1], 3, v15
	v_lshrrev_b32_e32 v11, 2, v11
	v_and_b32_e32 v16, 7, v13
	s_or_b64 vcc, s[0:1], vcc
	v_cmp_lt_i32_e64 s[2:3], 5, v16
	v_cmp_eq_u32_e64 s[4:5], 3, v16
	v_addc_co_u32_e32 v11, vcc, 0, v11, vcc
	v_lshrrev_b32_e32 v13, 2, v13
	s_or_b64 vcc, s[4:5], s[2:3]
	v_addc_co_u32_e32 v13, vcc, 0, v13, vcc
	v_cmp_gt_i32_e32 vcc, 31, v12
	v_cndmask_b32_e32 v11, v2, v11, vcc
	v_cmp_gt_i32_e32 vcc, 31, v14
	v_lshl_or_b32 v5, v5, 9, v2
	v_cndmask_b32_e32 v13, v2, v13, vcc
	v_cmp_eq_u32_e32 vcc, s18, v12
	v_lshrrev_b32_e32 v6, 16, v6
	v_lshl_or_b32 v9, v9, 9, v2
	v_cndmask_b32_e32 v5, v11, v5, vcc
	v_cmp_eq_u32_e32 vcc, s18, v14
	v_lshrrev_b32_e32 v10, 16, v10
	v_cndmask_b32_e32 v9, v13, v9, vcc
	v_and_or_b32 v5, v6, s17, v5
	v_and_or_b32 v6, v10, s17, v9
	v_and_b32_e32 v5, 0xffff, v5
	v_lshl_or_b32 v5, v6, 16, v5
	global_store_dword v[7:8], v5, off
	global_load_dword v9, v[0:1], off offset:480
	v_add_u32_e32 v5, 0x1000, v48
	ds_read2_b32 v[5:6], v5 offset0:120 offset1:224
	v_add_co_u32_e32 v7, vcc, s11, v7
	s_waitcnt lgkmcnt(0)
	v_lshrrev_b32_e32 v10, 16, v5
	s_waitcnt vmcnt(0)
	v_mul_f16_sdwa v11, v10, v9 dst_sel:DWORD dst_unused:UNUSED_PAD src0_sel:DWORD src1_sel:WORD_1
	v_fma_f16 v11, v5, v9, v11
	v_mul_f16_sdwa v5, v5, v9 dst_sel:DWORD dst_unused:UNUSED_PAD src0_sel:DWORD src1_sel:WORD_1
	v_cvt_f32_f16_e32 v11, v11
	v_fma_f16 v5, v9, v10, -v5
	v_cvt_f32_f16_e32 v5, v5
	v_cvt_f64_f32_e32 v[9:10], v11
	v_cvt_f64_f32_e32 v[11:12], v5
	v_mov_b32_e32 v5, s12
	v_mul_f64 v[9:10], v[9:10], s[14:15]
	v_addc_co_u32_e32 v8, vcc, v8, v5, vcc
	v_mul_f64 v[11:12], v[11:12], s[14:15]
	v_and_or_b32 v5, v10, s16, v9
	v_cmp_ne_u32_e32 vcc, 0, v5
	v_lshrrev_b32_e32 v9, 8, v10
	v_and_or_b32 v11, v12, s16, v11
	v_bfe_u32 v13, v10, 20, 11
	v_cndmask_b32_e64 v5, 0, 1, vcc
	v_cmp_ne_u32_e32 vcc, 0, v11
	v_lshrrev_b32_e32 v14, 8, v12
	v_bfe_u32 v15, v12, 20, 11
	v_sub_u32_e32 v16, 0x3f1, v13
	v_cndmask_b32_e64 v11, 0, 1, vcc
	v_and_or_b32 v5, v9, s10, v5
	v_sub_u32_e32 v17, 0x3f1, v15
	v_med3_i32 v9, v16, 0, 13
	v_and_or_b32 v11, v14, s10, v11
	v_or_b32_e32 v16, 0x1000, v5
	v_add_u32_e32 v13, 0xfffffc10, v13
	v_med3_i32 v14, v17, 0, 13
	v_cmp_ne_u32_e32 vcc, 0, v5
	v_or_b32_e32 v18, 0x1000, v11
	v_lshrrev_b32_e32 v20, v9, v16
	v_add_u32_e32 v15, 0xfffffc10, v15
	v_lshl_or_b32 v17, v13, 12, v5
	v_cndmask_b32_e64 v5, 0, 1, vcc
	v_cmp_ne_u32_e32 vcc, 0, v11
	v_lshrrev_b32_e32 v21, v14, v18
	v_lshlrev_b32_e32 v9, v9, v20
	v_lshl_or_b32 v19, v15, 12, v11
	v_cndmask_b32_e64 v11, 0, 1, vcc
	v_lshlrev_b32_e32 v14, v14, v21
	v_cmp_ne_u32_e32 vcc, v9, v16
	v_cndmask_b32_e64 v9, 0, 1, vcc
	v_cmp_ne_u32_e32 vcc, v14, v18
	v_cndmask_b32_e64 v14, 0, 1, vcc
	v_or_b32_e32 v9, v20, v9
	v_cmp_gt_i32_e32 vcc, 1, v13
	v_cndmask_b32_e32 v9, v17, v9, vcc
	v_or_b32_e32 v14, v21, v14
	v_cmp_gt_i32_e32 vcc, 1, v15
	v_and_b32_e32 v16, 7, v9
	v_cndmask_b32_e32 v14, v19, v14, vcc
	v_cmp_lt_i32_e32 vcc, 5, v16
	v_cmp_eq_u32_e64 s[0:1], 3, v16
	v_lshrrev_b32_e32 v9, 2, v9
	v_and_b32_e32 v17, 7, v14
	s_or_b64 vcc, s[0:1], vcc
	v_cmp_lt_i32_e64 s[2:3], 5, v17
	v_cmp_eq_u32_e64 s[4:5], 3, v17
	v_addc_co_u32_e32 v9, vcc, 0, v9, vcc
	v_lshrrev_b32_e32 v14, 2, v14
	s_or_b64 vcc, s[4:5], s[2:3]
	v_addc_co_u32_e32 v14, vcc, 0, v14, vcc
	v_cmp_gt_i32_e32 vcc, 31, v13
	v_cndmask_b32_e32 v9, v2, v9, vcc
	v_cmp_gt_i32_e32 vcc, 31, v15
	v_lshl_or_b32 v5, v5, 9, v2
	v_cndmask_b32_e32 v14, v2, v14, vcc
	v_cmp_eq_u32_e32 vcc, s18, v13
	v_lshrrev_b32_e32 v10, 16, v10
	v_lshl_or_b32 v11, v11, 9, v2
	v_cndmask_b32_e32 v5, v9, v5, vcc
	v_cmp_eq_u32_e32 vcc, s18, v15
	v_lshrrev_b32_e32 v12, 16, v12
	v_cndmask_b32_e32 v9, v14, v11, vcc
	v_and_or_b32 v5, v10, s17, v5
	v_and_or_b32 v9, v12, s17, v9
	v_and_b32_e32 v5, 0xffff, v5
	v_lshl_or_b32 v5, v9, 16, v5
	global_store_dword v[7:8], v5, off
	global_load_dword v5, v[0:1], off offset:896
	v_lshrrev_b32_e32 v9, 16, v6
	v_mov_b32_e32 v11, s12
	v_add_co_u32_e32 v7, vcc, s11, v7
	v_addc_co_u32_e32 v8, vcc, v8, v11, vcc
	s_waitcnt vmcnt(0)
	v_mul_f16_sdwa v10, v9, v5 dst_sel:DWORD dst_unused:UNUSED_PAD src0_sel:DWORD src1_sel:WORD_1
	v_fma_f16 v10, v6, v5, v10
	v_mul_f16_sdwa v6, v6, v5 dst_sel:DWORD dst_unused:UNUSED_PAD src0_sel:DWORD src1_sel:WORD_1
	v_cvt_f32_f16_e32 v10, v10
	v_fma_f16 v5, v5, v9, -v6
	v_cvt_f32_f16_e32 v9, v5
	v_cvt_f64_f32_e32 v[5:6], v10
	v_cvt_f64_f32_e32 v[9:10], v9
	v_mul_f64 v[5:6], v[5:6], s[14:15]
	v_mul_f64 v[9:10], v[9:10], s[14:15]
	v_and_or_b32 v5, v6, s16, v5
	v_cmp_ne_u32_e32 vcc, 0, v5
	v_and_or_b32 v9, v10, s16, v9
	v_lshrrev_b32_e32 v11, 8, v6
	v_bfe_u32 v12, v6, 20, 11
	v_cndmask_b32_e64 v5, 0, 1, vcc
	v_cmp_ne_u32_e32 vcc, 0, v9
	v_lshrrev_b32_e32 v13, 8, v10
	v_bfe_u32 v14, v10, 20, 11
	v_sub_u32_e32 v15, 0x3f1, v12
	v_cndmask_b32_e64 v9, 0, 1, vcc
	v_and_or_b32 v5, v11, s10, v5
	v_sub_u32_e32 v16, 0x3f1, v14
	v_med3_i32 v11, v15, 0, 13
	v_and_or_b32 v9, v13, s10, v9
	v_or_b32_e32 v15, 0x1000, v5
	v_add_u32_e32 v12, 0xfffffc10, v12
	v_med3_i32 v13, v16, 0, 13
	v_cmp_ne_u32_e32 vcc, 0, v5
	v_or_b32_e32 v17, 0x1000, v9
	v_lshrrev_b32_e32 v19, v11, v15
	v_add_u32_e32 v14, 0xfffffc10, v14
	v_lshl_or_b32 v16, v12, 12, v5
	v_cndmask_b32_e64 v5, 0, 1, vcc
	v_cmp_ne_u32_e32 vcc, 0, v9
	v_lshrrev_b32_e32 v20, v13, v17
	v_lshlrev_b32_e32 v11, v11, v19
	v_lshl_or_b32 v18, v14, 12, v9
	v_cndmask_b32_e64 v9, 0, 1, vcc
	v_lshlrev_b32_e32 v13, v13, v20
	v_cmp_ne_u32_e32 vcc, v11, v15
	v_cndmask_b32_e64 v11, 0, 1, vcc
	v_cmp_ne_u32_e32 vcc, v13, v17
	v_cndmask_b32_e64 v13, 0, 1, vcc
	v_or_b32_e32 v11, v19, v11
	v_cmp_gt_i32_e32 vcc, 1, v12
	v_cndmask_b32_e32 v11, v16, v11, vcc
	v_or_b32_e32 v13, v20, v13
	v_cmp_gt_i32_e32 vcc, 1, v14
	v_and_b32_e32 v15, 7, v11
	v_cndmask_b32_e32 v13, v18, v13, vcc
	v_cmp_lt_i32_e32 vcc, 5, v15
	v_cmp_eq_u32_e64 s[0:1], 3, v15
	v_lshrrev_b32_e32 v11, 2, v11
	v_and_b32_e32 v16, 7, v13
	s_or_b64 vcc, s[0:1], vcc
	v_cmp_lt_i32_e64 s[2:3], 5, v16
	v_cmp_eq_u32_e64 s[4:5], 3, v16
	v_addc_co_u32_e32 v11, vcc, 0, v11, vcc
	v_lshrrev_b32_e32 v13, 2, v13
	s_or_b64 vcc, s[4:5], s[2:3]
	v_addc_co_u32_e32 v13, vcc, 0, v13, vcc
	v_cmp_gt_i32_e32 vcc, 31, v12
	v_cndmask_b32_e32 v11, v2, v11, vcc
	v_cmp_gt_i32_e32 vcc, 31, v14
	v_lshl_or_b32 v5, v5, 9, v2
	v_cndmask_b32_e32 v13, v2, v13, vcc
	v_cmp_eq_u32_e32 vcc, s18, v12
	v_lshrrev_b32_e32 v6, 16, v6
	v_lshl_or_b32 v9, v9, 9, v2
	v_cndmask_b32_e32 v5, v11, v5, vcc
	v_cmp_eq_u32_e32 vcc, s18, v14
	v_lshrrev_b32_e32 v10, 16, v10
	v_cndmask_b32_e32 v9, v13, v9, vcc
	v_and_or_b32 v5, v6, s17, v5
	v_and_or_b32 v6, v10, s17, v9
	v_and_b32_e32 v5, 0xffff, v5
	v_lshl_or_b32 v5, v6, 16, v5
	global_store_dword v[7:8], v5, off
	global_load_dword v9, v[0:1], off offset:1312
	v_add_u32_e32 v5, 0x1400, v48
	ds_read2_b32 v[5:6], v5 offset0:72 offset1:176
	v_add_co_u32_e32 v7, vcc, s11, v7
	s_waitcnt lgkmcnt(0)
	v_lshrrev_b32_e32 v10, 16, v5
	s_waitcnt vmcnt(0)
	v_mul_f16_sdwa v11, v10, v9 dst_sel:DWORD dst_unused:UNUSED_PAD src0_sel:DWORD src1_sel:WORD_1
	v_fma_f16 v11, v5, v9, v11
	v_mul_f16_sdwa v5, v5, v9 dst_sel:DWORD dst_unused:UNUSED_PAD src0_sel:DWORD src1_sel:WORD_1
	v_cvt_f32_f16_e32 v11, v11
	v_fma_f16 v5, v9, v10, -v5
	v_cvt_f32_f16_e32 v5, v5
	v_cvt_f64_f32_e32 v[9:10], v11
	v_cvt_f64_f32_e32 v[11:12], v5
	v_mov_b32_e32 v5, s12
	v_mul_f64 v[9:10], v[9:10], s[14:15]
	v_addc_co_u32_e32 v8, vcc, v8, v5, vcc
	v_mul_f64 v[11:12], v[11:12], s[14:15]
	v_and_or_b32 v5, v10, s16, v9
	v_cmp_ne_u32_e32 vcc, 0, v5
	v_lshrrev_b32_e32 v9, 8, v10
	v_and_or_b32 v11, v12, s16, v11
	v_bfe_u32 v13, v10, 20, 11
	v_cndmask_b32_e64 v5, 0, 1, vcc
	v_cmp_ne_u32_e32 vcc, 0, v11
	v_lshrrev_b32_e32 v14, 8, v12
	v_bfe_u32 v15, v12, 20, 11
	v_sub_u32_e32 v16, 0x3f1, v13
	v_cndmask_b32_e64 v11, 0, 1, vcc
	v_and_or_b32 v5, v9, s10, v5
	v_sub_u32_e32 v17, 0x3f1, v15
	v_med3_i32 v9, v16, 0, 13
	v_and_or_b32 v11, v14, s10, v11
	v_or_b32_e32 v16, 0x1000, v5
	v_add_u32_e32 v13, 0xfffffc10, v13
	v_med3_i32 v14, v17, 0, 13
	v_cmp_ne_u32_e32 vcc, 0, v5
	v_or_b32_e32 v18, 0x1000, v11
	v_lshrrev_b32_e32 v20, v9, v16
	v_add_u32_e32 v15, 0xfffffc10, v15
	v_lshl_or_b32 v17, v13, 12, v5
	v_cndmask_b32_e64 v5, 0, 1, vcc
	v_cmp_ne_u32_e32 vcc, 0, v11
	v_lshrrev_b32_e32 v21, v14, v18
	v_lshlrev_b32_e32 v9, v9, v20
	v_lshl_or_b32 v19, v15, 12, v11
	v_cndmask_b32_e64 v11, 0, 1, vcc
	v_lshlrev_b32_e32 v14, v14, v21
	v_cmp_ne_u32_e32 vcc, v9, v16
	v_cndmask_b32_e64 v9, 0, 1, vcc
	v_cmp_ne_u32_e32 vcc, v14, v18
	v_cndmask_b32_e64 v14, 0, 1, vcc
	v_or_b32_e32 v9, v20, v9
	v_cmp_gt_i32_e32 vcc, 1, v13
	v_cndmask_b32_e32 v9, v17, v9, vcc
	v_or_b32_e32 v14, v21, v14
	v_cmp_gt_i32_e32 vcc, 1, v15
	v_and_b32_e32 v16, 7, v9
	v_cndmask_b32_e32 v14, v19, v14, vcc
	v_cmp_lt_i32_e32 vcc, 5, v16
	v_cmp_eq_u32_e64 s[0:1], 3, v16
	v_lshrrev_b32_e32 v9, 2, v9
	v_and_b32_e32 v17, 7, v14
	s_or_b64 vcc, s[0:1], vcc
	v_cmp_lt_i32_e64 s[2:3], 5, v17
	v_cmp_eq_u32_e64 s[4:5], 3, v17
	v_addc_co_u32_e32 v9, vcc, 0, v9, vcc
	v_lshrrev_b32_e32 v14, 2, v14
	s_or_b64 vcc, s[4:5], s[2:3]
	v_addc_co_u32_e32 v14, vcc, 0, v14, vcc
	v_cmp_gt_i32_e32 vcc, 31, v13
	v_cndmask_b32_e32 v9, v2, v9, vcc
	v_cmp_gt_i32_e32 vcc, 31, v15
	v_lshl_or_b32 v5, v5, 9, v2
	v_cndmask_b32_e32 v14, v2, v14, vcc
	v_cmp_eq_u32_e32 vcc, s18, v13
	v_lshrrev_b32_e32 v10, 16, v10
	v_lshl_or_b32 v11, v11, 9, v2
	v_cndmask_b32_e32 v5, v9, v5, vcc
	v_cmp_eq_u32_e32 vcc, s18, v15
	v_lshrrev_b32_e32 v12, 16, v12
	v_cndmask_b32_e32 v9, v14, v11, vcc
	v_and_or_b32 v5, v10, s17, v5
	v_and_or_b32 v9, v12, s17, v9
	v_and_b32_e32 v5, 0xffff, v5
	v_lshl_or_b32 v5, v9, 16, v5
	global_store_dword v[7:8], v5, off
	global_load_dword v5, v[0:1], off offset:1728
	v_lshrrev_b32_e32 v9, 16, v6
	v_mov_b32_e32 v11, s12
	v_add_co_u32_e32 v7, vcc, s11, v7
	v_addc_co_u32_e32 v8, vcc, v8, v11, vcc
	s_waitcnt vmcnt(0)
	v_mul_f16_sdwa v10, v9, v5 dst_sel:DWORD dst_unused:UNUSED_PAD src0_sel:DWORD src1_sel:WORD_1
	v_fma_f16 v10, v6, v5, v10
	v_mul_f16_sdwa v6, v6, v5 dst_sel:DWORD dst_unused:UNUSED_PAD src0_sel:DWORD src1_sel:WORD_1
	v_cvt_f32_f16_e32 v10, v10
	v_fma_f16 v5, v5, v9, -v6
	v_cvt_f32_f16_e32 v9, v5
	v_cvt_f64_f32_e32 v[5:6], v10
	v_cvt_f64_f32_e32 v[9:10], v9
	v_mul_f64 v[5:6], v[5:6], s[14:15]
	v_mul_f64 v[9:10], v[9:10], s[14:15]
	v_and_or_b32 v5, v6, s16, v5
	v_cmp_ne_u32_e32 vcc, 0, v5
	v_and_or_b32 v9, v10, s16, v9
	v_lshrrev_b32_e32 v11, 8, v6
	v_bfe_u32 v12, v6, 20, 11
	v_cndmask_b32_e64 v5, 0, 1, vcc
	v_cmp_ne_u32_e32 vcc, 0, v9
	v_lshrrev_b32_e32 v13, 8, v10
	v_bfe_u32 v14, v10, 20, 11
	v_sub_u32_e32 v15, 0x3f1, v12
	v_cndmask_b32_e64 v9, 0, 1, vcc
	v_and_or_b32 v5, v11, s10, v5
	v_sub_u32_e32 v16, 0x3f1, v14
	v_med3_i32 v11, v15, 0, 13
	v_and_or_b32 v9, v13, s10, v9
	v_or_b32_e32 v15, 0x1000, v5
	v_add_u32_e32 v12, 0xfffffc10, v12
	v_med3_i32 v13, v16, 0, 13
	v_cmp_ne_u32_e32 vcc, 0, v5
	v_or_b32_e32 v17, 0x1000, v9
	v_lshrrev_b32_e32 v19, v11, v15
	v_add_u32_e32 v14, 0xfffffc10, v14
	v_lshl_or_b32 v16, v12, 12, v5
	v_cndmask_b32_e64 v5, 0, 1, vcc
	v_cmp_ne_u32_e32 vcc, 0, v9
	v_lshrrev_b32_e32 v20, v13, v17
	v_lshlrev_b32_e32 v11, v11, v19
	v_lshl_or_b32 v18, v14, 12, v9
	v_cndmask_b32_e64 v9, 0, 1, vcc
	v_lshlrev_b32_e32 v13, v13, v20
	v_cmp_ne_u32_e32 vcc, v11, v15
	v_cndmask_b32_e64 v11, 0, 1, vcc
	v_cmp_ne_u32_e32 vcc, v13, v17
	v_cndmask_b32_e64 v13, 0, 1, vcc
	v_or_b32_e32 v11, v19, v11
	v_cmp_gt_i32_e32 vcc, 1, v12
	v_cndmask_b32_e32 v11, v16, v11, vcc
	v_or_b32_e32 v13, v20, v13
	v_cmp_gt_i32_e32 vcc, 1, v14
	v_and_b32_e32 v15, 7, v11
	v_cndmask_b32_e32 v13, v18, v13, vcc
	v_cmp_lt_i32_e32 vcc, 5, v15
	v_cmp_eq_u32_e64 s[0:1], 3, v15
	v_lshrrev_b32_e32 v11, 2, v11
	v_and_b32_e32 v16, 7, v13
	s_or_b64 vcc, s[0:1], vcc
	v_cmp_lt_i32_e64 s[2:3], 5, v16
	v_cmp_eq_u32_e64 s[4:5], 3, v16
	v_addc_co_u32_e32 v11, vcc, 0, v11, vcc
	v_lshrrev_b32_e32 v13, 2, v13
	s_or_b64 vcc, s[4:5], s[2:3]
	v_addc_co_u32_e32 v13, vcc, 0, v13, vcc
	v_cmp_gt_i32_e32 vcc, 31, v12
	v_cndmask_b32_e32 v11, v2, v11, vcc
	v_cmp_gt_i32_e32 vcc, 31, v14
	v_lshl_or_b32 v5, v5, 9, v2
	v_cndmask_b32_e32 v13, v2, v13, vcc
	v_cmp_eq_u32_e32 vcc, s18, v12
	v_lshrrev_b32_e32 v6, 16, v6
	v_lshl_or_b32 v9, v9, 9, v2
	v_cndmask_b32_e32 v5, v11, v5, vcc
	v_cmp_eq_u32_e32 vcc, s18, v14
	v_lshrrev_b32_e32 v10, 16, v10
	v_cndmask_b32_e32 v9, v13, v9, vcc
	v_and_or_b32 v5, v6, s17, v5
	v_and_or_b32 v6, v10, s17, v9
	v_and_b32_e32 v5, 0xffff, v5
	v_lshl_or_b32 v5, v6, 16, v5
	global_store_dword v[7:8], v5, off
	global_load_dword v5, v[0:1], off offset:2144
	v_add_u32_e32 v0, 0x1800, v48
	ds_read2_b32 v[0:1], v0 offset0:24 offset1:128
	v_mov_b32_e32 v12, s12
	v_add_co_u32_e32 v7, vcc, s11, v7
	v_addc_co_u32_e32 v8, vcc, v8, v12, vcc
	s_waitcnt lgkmcnt(0)
	v_lshrrev_b32_e32 v6, 16, v0
	v_or_b32_e32 v11, 0x680, v172
	s_waitcnt vmcnt(0)
	v_mul_f16_sdwa v9, v6, v5 dst_sel:DWORD dst_unused:UNUSED_PAD src0_sel:DWORD src1_sel:WORD_1
	v_fma_f16 v9, v0, v5, v9
	v_mul_f16_sdwa v0, v0, v5 dst_sel:DWORD dst_unused:UNUSED_PAD src0_sel:DWORD src1_sel:WORD_1
	v_cvt_f32_f16_e32 v9, v9
	v_fma_f16 v0, v5, v6, -v0
	v_cvt_f32_f16_e32 v0, v0
	v_cvt_f64_f32_e32 v[5:6], v9
	v_cvt_f64_f32_e32 v[9:10], v0
	v_lshlrev_b32_e32 v0, 2, v11
	v_mul_f64 v[5:6], v[5:6], s[14:15]
	v_mul_f64 v[9:10], v[9:10], s[14:15]
	v_and_or_b32 v5, v6, s16, v5
	v_cmp_ne_u32_e32 vcc, 0, v5
	v_and_or_b32 v9, v10, s16, v9
	v_lshrrev_b32_e32 v12, 8, v6
	v_bfe_u32 v13, v6, 20, 11
	v_cndmask_b32_e64 v5, 0, 1, vcc
	v_cmp_ne_u32_e32 vcc, 0, v9
	v_lshrrev_b32_e32 v14, 8, v10
	v_bfe_u32 v15, v10, 20, 11
	v_sub_u32_e32 v16, 0x3f1, v13
	v_cndmask_b32_e64 v9, 0, 1, vcc
	v_and_or_b32 v5, v12, s10, v5
	v_sub_u32_e32 v17, 0x3f1, v15
	v_med3_i32 v12, v16, 0, 13
	v_and_or_b32 v9, v14, s10, v9
	v_or_b32_e32 v16, 0x1000, v5
	v_add_u32_e32 v13, 0xfffffc10, v13
	v_med3_i32 v14, v17, 0, 13
	v_cmp_ne_u32_e32 vcc, 0, v5
	v_or_b32_e32 v18, 0x1000, v9
	v_lshrrev_b32_e32 v20, v12, v16
	v_add_u32_e32 v15, 0xfffffc10, v15
	v_lshl_or_b32 v17, v13, 12, v5
	v_cndmask_b32_e64 v5, 0, 1, vcc
	v_cmp_ne_u32_e32 vcc, 0, v9
	v_lshrrev_b32_e32 v21, v14, v18
	v_lshlrev_b32_e32 v12, v12, v20
	v_lshl_or_b32 v19, v15, 12, v9
	v_cndmask_b32_e64 v9, 0, 1, vcc
	v_lshlrev_b32_e32 v14, v14, v21
	v_cmp_ne_u32_e32 vcc, v12, v16
	v_cndmask_b32_e64 v12, 0, 1, vcc
	v_cmp_ne_u32_e32 vcc, v14, v18
	v_cndmask_b32_e64 v14, 0, 1, vcc
	v_or_b32_e32 v12, v20, v12
	v_cmp_gt_i32_e32 vcc, 1, v13
	v_cndmask_b32_e32 v12, v17, v12, vcc
	v_or_b32_e32 v14, v21, v14
	v_cmp_gt_i32_e32 vcc, 1, v15
	v_and_b32_e32 v16, 7, v12
	v_cndmask_b32_e32 v14, v19, v14, vcc
	v_cmp_lt_i32_e32 vcc, 5, v16
	v_cmp_eq_u32_e64 s[0:1], 3, v16
	v_lshrrev_b32_e32 v12, 2, v12
	v_and_b32_e32 v17, 7, v14
	s_or_b64 vcc, s[0:1], vcc
	v_cmp_lt_i32_e64 s[2:3], 5, v17
	v_cmp_eq_u32_e64 s[4:5], 3, v17
	v_addc_co_u32_e32 v12, vcc, 0, v12, vcc
	v_lshrrev_b32_e32 v14, 2, v14
	s_or_b64 vcc, s[4:5], s[2:3]
	v_addc_co_u32_e32 v14, vcc, 0, v14, vcc
	v_cmp_gt_i32_e32 vcc, 31, v13
	v_cndmask_b32_e32 v12, v2, v12, vcc
	v_cmp_gt_i32_e32 vcc, 31, v15
	v_lshl_or_b32 v5, v5, 9, v2
	v_cndmask_b32_e32 v14, v2, v14, vcc
	v_cmp_eq_u32_e32 vcc, s18, v13
	v_lshrrev_b32_e32 v6, 16, v6
	v_lshl_or_b32 v9, v9, 9, v2
	v_cndmask_b32_e32 v5, v12, v5, vcc
	v_cmp_eq_u32_e32 vcc, s18, v15
	v_lshrrev_b32_e32 v10, 16, v10
	v_cndmask_b32_e32 v9, v14, v9, vcc
	v_and_or_b32 v5, v6, s17, v5
	v_and_or_b32 v6, v10, s17, v9
	v_and_b32_e32 v5, 0xffff, v5
	v_lshl_or_b32 v5, v6, 16, v5
	global_store_dword v[7:8], v5, off
	global_load_dword v0, v0, s[6:7]
	v_lshrrev_b32_e32 v7, 16, v1
	v_mad_u64_u32 v[5:6], s[0:1], s8, v11, 0
	s_waitcnt vmcnt(0)
	v_mul_f16_sdwa v8, v7, v0 dst_sel:DWORD dst_unused:UNUSED_PAD src0_sel:DWORD src1_sel:WORD_1
	v_fma_f16 v8, v1, v0, v8
	v_mul_f16_sdwa v1, v1, v0 dst_sel:DWORD dst_unused:UNUSED_PAD src0_sel:DWORD src1_sel:WORD_1
	v_cvt_f32_f16_e32 v8, v8
	v_fma_f16 v0, v0, v7, -v1
	v_cvt_f32_f16_e32 v7, v0
	v_cvt_f64_f32_e32 v[0:1], v8
	v_cvt_f64_f32_e32 v[7:8], v7
	v_mul_f64 v[0:1], v[0:1], s[14:15]
	v_mad_u64_u32 v[9:10], s[0:1], s9, v11, v[6:7]
	v_mul_f64 v[7:8], v[7:8], s[14:15]
	v_mov_b32_e32 v6, v9
	v_lshlrev_b64 v[5:6], 2, v[5:6]
	v_and_or_b32 v0, v1, s16, v0
	v_cmp_ne_u32_e32 vcc, 0, v0
	v_lshrrev_b32_e32 v9, 8, v1
	v_bfe_u32 v10, v1, 20, 11
	v_and_or_b32 v7, v8, s16, v7
	v_cndmask_b32_e64 v0, 0, 1, vcc
	v_cmp_ne_u32_e32 vcc, 0, v7
	v_lshrrev_b32_e32 v11, 8, v8
	v_bfe_u32 v12, v8, 20, 11
	v_sub_u32_e32 v13, 0x3f1, v10
	v_cndmask_b32_e64 v7, 0, 1, vcc
	v_and_or_b32 v0, v9, s10, v0
	v_sub_u32_e32 v14, 0x3f1, v12
	v_med3_i32 v9, v13, 0, 13
	v_and_or_b32 v7, v11, s10, v7
	v_or_b32_e32 v13, 0x1000, v0
	v_add_u32_e32 v10, 0xfffffc10, v10
	v_med3_i32 v11, v14, 0, 13
	v_cmp_ne_u32_e32 vcc, 0, v0
	v_or_b32_e32 v15, 0x1000, v7
	v_lshrrev_b32_e32 v17, v9, v13
	v_add_u32_e32 v12, 0xfffffc10, v12
	v_lshl_or_b32 v14, v10, 12, v0
	v_cndmask_b32_e64 v0, 0, 1, vcc
	v_cmp_ne_u32_e32 vcc, 0, v7
	v_lshrrev_b32_e32 v18, v11, v15
	v_lshlrev_b32_e32 v9, v9, v17
	v_lshl_or_b32 v16, v12, 12, v7
	v_cndmask_b32_e64 v7, 0, 1, vcc
	v_lshlrev_b32_e32 v11, v11, v18
	v_cmp_ne_u32_e32 vcc, v9, v13
	v_cndmask_b32_e64 v9, 0, 1, vcc
	v_cmp_ne_u32_e32 vcc, v11, v15
	v_cndmask_b32_e64 v11, 0, 1, vcc
	v_or_b32_e32 v9, v17, v9
	v_cmp_gt_i32_e32 vcc, 1, v10
	v_cndmask_b32_e32 v9, v14, v9, vcc
	v_or_b32_e32 v11, v18, v11
	v_cmp_gt_i32_e32 vcc, 1, v12
	v_and_b32_e32 v13, 7, v9
	v_cndmask_b32_e32 v11, v16, v11, vcc
	v_cmp_lt_i32_e32 vcc, 5, v13
	v_cmp_eq_u32_e64 s[0:1], 3, v13
	v_lshrrev_b32_e32 v9, 2, v9
	v_and_b32_e32 v14, 7, v11
	s_or_b64 vcc, s[0:1], vcc
	v_cmp_lt_i32_e64 s[2:3], 5, v14
	v_cmp_eq_u32_e64 s[4:5], 3, v14
	v_addc_co_u32_e32 v9, vcc, 0, v9, vcc
	v_lshrrev_b32_e32 v11, 2, v11
	s_or_b64 vcc, s[4:5], s[2:3]
	v_addc_co_u32_e32 v11, vcc, 0, v11, vcc
	v_cmp_gt_i32_e32 vcc, 31, v10
	v_cndmask_b32_e32 v9, v2, v9, vcc
	v_cmp_gt_i32_e32 vcc, 31, v12
	v_lshl_or_b32 v0, v0, 9, v2
	v_lshl_or_b32 v7, v7, 9, v2
	v_cndmask_b32_e32 v2, v2, v11, vcc
	v_cmp_eq_u32_e32 vcc, s18, v10
	v_lshrrev_b32_e32 v1, 16, v1
	v_cndmask_b32_e32 v0, v9, v0, vcc
	v_cmp_eq_u32_e32 vcc, s18, v12
	v_lshrrev_b32_e32 v8, 16, v8
	v_cndmask_b32_e32 v2, v2, v7, vcc
	v_and_or_b32 v0, v1, s17, v0
	v_and_or_b32 v1, v8, s17, v2
	v_and_b32_e32 v0, 0xffff, v0
	v_lshl_or_b32 v2, v1, 16, v0
	v_add_co_u32_e32 v0, vcc, v3, v5
	v_addc_co_u32_e32 v1, vcc, v4, v6, vcc
	global_store_dword v[0:1], v2, off
.LBB0_23:
	s_endpgm
	.section	.rodata,"a",@progbits
	.p2align	6, 0x0
	.amdhsa_kernel bluestein_single_back_len1768_dim1_half_op_CI_CI
		.amdhsa_group_segment_fixed_size 7072
		.amdhsa_private_segment_fixed_size 20
		.amdhsa_kernarg_size 104
		.amdhsa_user_sgpr_count 6
		.amdhsa_user_sgpr_private_segment_buffer 1
		.amdhsa_user_sgpr_dispatch_ptr 0
		.amdhsa_user_sgpr_queue_ptr 0
		.amdhsa_user_sgpr_kernarg_segment_ptr 1
		.amdhsa_user_sgpr_dispatch_id 0
		.amdhsa_user_sgpr_flat_scratch_init 0
		.amdhsa_user_sgpr_private_segment_size 0
		.amdhsa_uses_dynamic_stack 0
		.amdhsa_system_sgpr_private_segment_wavefront_offset 1
		.amdhsa_system_sgpr_workgroup_id_x 1
		.amdhsa_system_sgpr_workgroup_id_y 0
		.amdhsa_system_sgpr_workgroup_id_z 0
		.amdhsa_system_sgpr_workgroup_info 0
		.amdhsa_system_vgpr_workitem_id 0
		.amdhsa_next_free_vgpr 256
		.amdhsa_next_free_sgpr 52
		.amdhsa_reserve_vcc 1
		.amdhsa_reserve_flat_scratch 0
		.amdhsa_float_round_mode_32 0
		.amdhsa_float_round_mode_16_64 0
		.amdhsa_float_denorm_mode_32 3
		.amdhsa_float_denorm_mode_16_64 3
		.amdhsa_dx10_clamp 1
		.amdhsa_ieee_mode 1
		.amdhsa_fp16_overflow 0
		.amdhsa_exception_fp_ieee_invalid_op 0
		.amdhsa_exception_fp_denorm_src 0
		.amdhsa_exception_fp_ieee_div_zero 0
		.amdhsa_exception_fp_ieee_overflow 0
		.amdhsa_exception_fp_ieee_underflow 0
		.amdhsa_exception_fp_ieee_inexact 0
		.amdhsa_exception_int_div_zero 0
	.end_amdhsa_kernel
	.text
.Lfunc_end0:
	.size	bluestein_single_back_len1768_dim1_half_op_CI_CI, .Lfunc_end0-bluestein_single_back_len1768_dim1_half_op_CI_CI
                                        ; -- End function
	.section	.AMDGPU.csdata,"",@progbits
; Kernel info:
; codeLenInByte = 32368
; NumSgprs: 56
; NumVgprs: 256
; ScratchSize: 20
; MemoryBound: 0
; FloatMode: 240
; IeeeMode: 1
; LDSByteSize: 7072 bytes/workgroup (compile time only)
; SGPRBlocks: 6
; VGPRBlocks: 63
; NumSGPRsForWavesPerEU: 56
; NumVGPRsForWavesPerEU: 256
; Occupancy: 1
; WaveLimiterHint : 1
; COMPUTE_PGM_RSRC2:SCRATCH_EN: 1
; COMPUTE_PGM_RSRC2:USER_SGPR: 6
; COMPUTE_PGM_RSRC2:TRAP_HANDLER: 0
; COMPUTE_PGM_RSRC2:TGID_X_EN: 1
; COMPUTE_PGM_RSRC2:TGID_Y_EN: 0
; COMPUTE_PGM_RSRC2:TGID_Z_EN: 0
; COMPUTE_PGM_RSRC2:TIDIG_COMP_CNT: 0
	.type	__hip_cuid_d5b43c80b2a33118,@object ; @__hip_cuid_d5b43c80b2a33118
	.section	.bss,"aw",@nobits
	.globl	__hip_cuid_d5b43c80b2a33118
__hip_cuid_d5b43c80b2a33118:
	.byte	0                               ; 0x0
	.size	__hip_cuid_d5b43c80b2a33118, 1

	.ident	"AMD clang version 19.0.0git (https://github.com/RadeonOpenCompute/llvm-project roc-6.4.0 25133 c7fe45cf4b819c5991fe208aaa96edf142730f1d)"
	.section	".note.GNU-stack","",@progbits
	.addrsig
	.addrsig_sym __hip_cuid_d5b43c80b2a33118
	.amdgpu_metadata
---
amdhsa.kernels:
  - .args:
      - .actual_access:  read_only
        .address_space:  global
        .offset:         0
        .size:           8
        .value_kind:     global_buffer
      - .actual_access:  read_only
        .address_space:  global
        .offset:         8
        .size:           8
        .value_kind:     global_buffer
      - .actual_access:  read_only
        .address_space:  global
        .offset:         16
        .size:           8
        .value_kind:     global_buffer
      - .actual_access:  read_only
        .address_space:  global
        .offset:         24
        .size:           8
        .value_kind:     global_buffer
      - .actual_access:  read_only
        .address_space:  global
        .offset:         32
        .size:           8
        .value_kind:     global_buffer
      - .offset:         40
        .size:           8
        .value_kind:     by_value
      - .address_space:  global
        .offset:         48
        .size:           8
        .value_kind:     global_buffer
      - .address_space:  global
        .offset:         56
        .size:           8
        .value_kind:     global_buffer
      - .address_space:  global
        .offset:         64
        .size:           8
        .value_kind:     global_buffer
      - .address_space:  global
        .offset:         72
        .size:           8
        .value_kind:     global_buffer
      - .offset:         80
        .size:           4
        .value_kind:     by_value
      - .address_space:  global
        .offset:         88
        .size:           8
        .value_kind:     global_buffer
      - .address_space:  global
        .offset:         96
        .size:           8
        .value_kind:     global_buffer
    .group_segment_fixed_size: 7072
    .kernarg_segment_align: 8
    .kernarg_segment_size: 104
    .language:       OpenCL C
    .language_version:
      - 2
      - 0
    .max_flat_workgroup_size: 136
    .name:           bluestein_single_back_len1768_dim1_half_op_CI_CI
    .private_segment_fixed_size: 20
    .sgpr_count:     56
    .sgpr_spill_count: 0
    .symbol:         bluestein_single_back_len1768_dim1_half_op_CI_CI.kd
    .uniform_work_group_size: 1
    .uses_dynamic_stack: false
    .vgpr_count:     256
    .vgpr_spill_count: 4
    .wavefront_size: 64
amdhsa.target:   amdgcn-amd-amdhsa--gfx906
amdhsa.version:
  - 1
  - 2
...

	.end_amdgpu_metadata
